;; amdgpu-corpus repo=ROCm/rocFFT kind=compiled arch=gfx1100 opt=O3
	.text
	.amdgcn_target "amdgcn-amd-amdhsa--gfx1100"
	.amdhsa_code_object_version 6
	.protected	bluestein_single_back_len2187_dim1_sp_op_CI_CI ; -- Begin function bluestein_single_back_len2187_dim1_sp_op_CI_CI
	.globl	bluestein_single_back_len2187_dim1_sp_op_CI_CI
	.p2align	8
	.type	bluestein_single_back_len2187_dim1_sp_op_CI_CI,@function
bluestein_single_back_len2187_dim1_sp_op_CI_CI: ; @bluestein_single_back_len2187_dim1_sp_op_CI_CI
; %bb.0:
	s_load_b128 s[16:19], s[0:1], 0x28
	v_mul_u32_u24_e32 v1, 0x10e, v0
	s_mov_b32 s2, exec_lo
	v_mov_b32_e32 v69, 0
	s_delay_alu instid0(VALU_DEP_2) | instskip(NEXT) | instid1(VALU_DEP_1)
	v_lshrrev_b32_e32 v1, 16, v1
	v_add_nc_u32_e32 v68, s15, v1
	s_waitcnt lgkmcnt(0)
	s_delay_alu instid0(VALU_DEP_1)
	v_cmpx_gt_u64_e64 s[16:17], v[68:69]
	s_cbranch_execz .LBB0_2
; %bb.1:
	s_clause 0x1
	s_load_b128 s[4:7], s[0:1], 0x18
	s_load_b128 s[8:11], s[0:1], 0x0
	v_mul_lo_u16 v1, 0xf3, v1
	s_load_b64 s[0:1], s[0:1], 0x38
	s_delay_alu instid0(VALU_DEP_1) | instskip(NEXT) | instid1(VALU_DEP_1)
	v_sub_nc_u16 v36, v0, v1
	v_and_b32_e32 v87, 0xffff, v36
	v_and_b32_e32 v38, 0xff, v36
	s_delay_alu instid0(VALU_DEP_2)
	v_lshlrev_b32_e32 v88, 3, v87
	s_waitcnt lgkmcnt(0)
	s_load_b128 s[12:15], s[4:5], 0x0
	global_load_b64 v[69:70], v88, s[8:9]
	s_waitcnt lgkmcnt(0)
	v_mad_u64_u32 v[0:1], null, s14, v68, 0
	v_mad_u64_u32 v[2:3], null, s12, v87, 0
	s_mul_i32 s2, s13, 0x16c8
	s_mul_hi_u32 s3, s12, 0x16c8
	s_mul_i32 s4, s12, 0x16c8
	s_add_i32 s3, s3, s2
	v_add_co_u32 v93, s2, s8, v88
	s_delay_alu instid0(VALU_DEP_2) | instskip(SKIP_2) | instid1(SALU_CYCLE_1)
	v_mad_u64_u32 v[4:5], null, s15, v68, v[1:2]
	v_add_co_ci_u32_e64 v94, null, s9, 0, s2
	s_mul_i32 s2, s13, 0xffffda08
	s_sub_i32 s2, s2, s12
	s_delay_alu instid0(VALU_DEP_2) | instskip(SKIP_1) | instid1(VALU_DEP_1)
	v_mad_u64_u32 v[5:6], null, s13, v87, v[3:4]
	v_mov_b32_e32 v1, v4
	v_lshlrev_b64 v[0:1], 3, v[0:1]
	s_delay_alu instid0(VALU_DEP_3) | instskip(NEXT) | instid1(VALU_DEP_2)
	v_mov_b32_e32 v3, v5
	v_add_co_u32 v0, vcc_lo, s18, v0
	s_delay_alu instid0(VALU_DEP_2) | instskip(NEXT) | instid1(VALU_DEP_4)
	v_lshlrev_b64 v[2:3], 3, v[2:3]
	v_add_co_ci_u32_e32 v1, vcc_lo, s19, v1, vcc_lo
	s_delay_alu instid0(VALU_DEP_2) | instskip(NEXT) | instid1(VALU_DEP_2)
	v_add_co_u32 v0, vcc_lo, v0, v2
	v_add_co_ci_u32_e32 v1, vcc_lo, v1, v3, vcc_lo
	s_delay_alu instid0(VALU_DEP_2) | instskip(NEXT) | instid1(VALU_DEP_2)
	v_add_co_u32 v2, vcc_lo, v0, s4
	v_add_co_ci_u32_e32 v3, vcc_lo, s3, v1, vcc_lo
	global_load_b64 v[0:1], v[0:1], off
	v_add_co_u32 v4, vcc_lo, v2, s4
	v_add_co_ci_u32_e32 v5, vcc_lo, s3, v3, vcc_lo
	v_add_co_u32 v8, vcc_lo, 0x1000, v93
	v_add_co_ci_u32_e32 v9, vcc_lo, 0, v94, vcc_lo
	;; [unrolled: 2-line block ×3, first 2 shown]
	global_load_b64 v[71:72], v[8:9], off offset:1736
	v_mad_u64_u32 v[6:7], null, 0xffffda08, s12, v[4:5]
	global_load_b64 v[73:74], v[10:11], off offset:3472
	s_clause 0x1
	global_load_b64 v[2:3], v[2:3], off
	global_load_b64 v[4:5], v[4:5], off
	v_add_nc_u32_e32 v92, 0x3500, v88
	v_add_nc_u32_e32 v89, 0x1e00, v88
	;; [unrolled: 1-line block ×3, first 2 shown]
	v_add_co_u32 v12, vcc_lo, v6, s4
	s_delay_alu instid0(VALU_DEP_2) | instskip(NEXT) | instid1(VALU_DEP_2)
	v_add_co_ci_u32_e32 v13, vcc_lo, s3, v7, vcc_lo
	v_add_co_u32 v14, vcc_lo, v12, s4
	s_delay_alu instid0(VALU_DEP_2) | instskip(SKIP_2) | instid1(VALU_DEP_3)
	v_add_co_ci_u32_e32 v15, vcc_lo, s3, v13, vcc_lo
	v_add_co_u32 v18, vcc_lo, 0x3000, v93
	v_add_co_ci_u32_e32 v19, vcc_lo, 0, v94, vcc_lo
	v_mad_u64_u32 v[16:17], null, 0xffffda08, s12, v[14:15]
	global_load_b64 v[6:7], v[6:7], off
	s_clause 0x3
	global_load_b64 v[77:78], v88, s[8:9] offset:1944
	global_load_b64 v[75:76], v88, s[8:9] offset:3888
	global_load_b64 v[81:82], v[8:9], off offset:3680
	global_load_b64 v[79:80], v[18:19], off offset:1320
	global_load_b64 v[8:9], v[12:13], off
	global_load_b64 v[12:13], v[14:15], off
	v_add_nc_u32_e32 v90, 0x2d80, v88
	v_add_nc_u32_e32 v17, s2, v17
	v_add_co_u32 v14, vcc_lo, v16, s4
	s_waitcnt vmcnt(8)
	v_mul_f32_e32 v28, v2, v72
	s_delay_alu instid0(VALU_DEP_3) | instskip(NEXT) | instid1(VALU_DEP_3)
	v_add_co_ci_u32_e32 v15, vcc_lo, s3, v17, vcc_lo
	v_add_co_u32 v20, vcc_lo, v14, s4
	global_load_b64 v[16:17], v[16:17], off
	v_add_co_ci_u32_e32 v21, vcc_lo, s3, v15, vcc_lo
	global_load_b64 v[83:84], v[10:11], off offset:1528
	global_load_b64 v[10:11], v[14:15], off
	global_load_b64 v[85:86], v[18:19], off offset:3264
	global_load_b64 v[14:15], v[20:21], off
	v_mul_lo_u16 v18, v36, 3
	v_mul_lo_u16 v19, 0xab, v38
	s_load_b128 s[4:7], s[6:7], 0x0
	s_delay_alu instid0(VALU_DEP_2) | instskip(NEXT) | instid1(VALU_DEP_2)
	v_and_b32_e32 v18, 0xffff, v18
	v_lshrrev_b16 v23, 9, v19
	s_delay_alu instid0(VALU_DEP_2) | instskip(SKIP_3) | instid1(VALU_DEP_2)
	v_lshlrev_b32_e32 v95, 3, v18
	v_mul_f32_e32 v18, v1, v70
	v_add_co_u32 v48, null, 0xf3, v87
	v_add_co_u32 v49, null, 0x1e6, v87
	v_dual_fmac_f32 v18, v0, v69 :: v_dual_and_b32 v37, 0xffff, v48
	v_mul_lo_u16 v24, v23, 3
	s_delay_alu instid0(VALU_DEP_3) | instskip(NEXT) | instid1(VALU_DEP_3)
	v_and_b32_e32 v50, 0xffff, v49
	v_mul_u32_u24_e32 v20, 0xaaab, v37
	s_waitcnt lgkmcnt(0)
	s_mul_i32 s8, s4, 0x16c8
	s_delay_alu instid0(VALU_DEP_2) | instskip(NEXT) | instid1(VALU_DEP_2)
	v_mul_u32_u24_e32 v21, 0xaaab, v50
	v_lshrrev_b32_e32 v22, 17, v20
	v_mul_f32_e32 v20, v3, v72
	s_delay_alu instid0(VALU_DEP_3)
	v_lshrrev_b32_e32 v25, 17, v21
	v_mul_f32_e32 v21, v0, v70
	s_waitcnt vmcnt(12)
	v_mul_f32_e32 v0, v5, v74
	v_mul_lo_u16 v19, v22, 3
	v_dual_fmac_f32 v20, v2, v71 :: v_dual_add_nc_u32 v91, 0xf00, v88
	s_waitcnt vmcnt(10)
	v_mul_f32_e32 v2, v7, v78
	v_fmac_f32_e32 v0, v4, v73
	v_sub_nc_u16 v27, v48, v19
	v_fma_f32 v19, v1, v69, -v21
	v_mul_f32_e32 v1, v4, v74
	v_fma_f32 v21, v3, v71, -v28
	v_mul_f32_e32 v3, v6, v78
	s_waitcnt vmcnt(6)
	v_mul_f32_e32 v4, v9, v82
	v_mul_lo_u16 v26, v25, 3
	v_fma_f32 v1, v5, v73, -v1
	v_mul_f32_e32 v5, v8, v82
	v_fma_f32 v3, v7, v77, -v3
	s_waitcnt vmcnt(5)
	v_mul_f32_e32 v7, v12, v80
	s_delay_alu instid0(VALU_DEP_3) | instskip(NEXT) | instid1(VALU_DEP_2)
	v_fma_f32 v5, v9, v81, -v5
	v_fma_f32 v7, v13, v79, -v7
	s_waitcnt vmcnt(4)
	v_dual_mul_f32 v9, v16, v76 :: v_dual_fmac_f32 v2, v6, v77
	v_mul_f32_e32 v6, v13, v80
	s_waitcnt vmcnt(2)
	v_dual_mul_f32 v13, v10, v84 :: v_dual_fmac_f32 v4, v8, v81
	v_mul_f32_e32 v8, v17, v76
	s_waitcnt vmcnt(0)
	v_mul_f32_e32 v28, v14, v86
	v_fmac_f32_e32 v6, v12, v79
	v_mul_f32_e32 v12, v11, v84
	v_fma_f32 v9, v17, v75, -v9
	v_fmac_f32_e32 v8, v16, v75
	v_mul_f32_e32 v16, v15, v86
	v_fma_f32 v13, v11, v83, -v13
	v_fmac_f32_e32 v12, v10, v83
	v_fma_f32 v17, v15, v85, -v28
	s_delay_alu instid0(VALU_DEP_4)
	v_fmac_f32_e32 v16, v14, v85
	ds_store_b64 v88, v[20:21] offset:5832
	ds_store_b64 v88, v[0:1] offset:11664
	ds_store_2addr_b64 v88, v[18:19], v[2:3] offset1:243
	ds_store_b64 v88, v[8:9] offset:3888
	ds_store_2addr_b64 v89, v[4:5], v[12:13] offset0:12 offset1:255
	ds_store_2addr_b64 v92, v[6:7], v[16:17] offset0:5 offset1:248
	s_waitcnt lgkmcnt(0)
	s_barrier
	buffer_gl0_inv
	ds_load_2addr_b64 v[0:3], v88 offset1:243
	ds_load_2addr_b64 v[4:7], v91 offset0:6 offset1:249
	ds_load_2addr_b64 v[8:11], v90 offset0:2 offset1:245
	v_mul_u32_u24_e32 v16, 3, v48
	v_sub_nc_u16 v17, v36, v24
	ds_load_2addr_b64 v[12:15], v89 offset0:12 offset1:255
	v_sub_nc_u16 v18, v49, v26
	v_mul_u32_u24_e32 v20, 3, v49
	v_lshlrev_b32_e32 v97, 3, v16
	v_and_b32_e32 v21, 0xff, v17
	ds_load_b64 v[16:17], v88 offset:15552
	v_lshlrev_b16 v24, 1, v18
	v_lshlrev_b32_e32 v98, 3, v20
	v_lshlrev_b16 v19, 1, v27
	v_lshlrev_b32_e32 v20, 4, v21
	s_waitcnt lgkmcnt(0)
	v_and_b32_e32 v24, 0xffff, v24
	s_barrier
	v_and_b32_e32 v19, 0xffff, v19
	buffer_gl0_inv
	v_mad_u16 v25, v25, 9, v18
	v_add_f32_e32 v31, v7, v9
	v_sub_f32_e32 v29, v7, v9
	v_lshlrev_b32_e32 v19, 3, v19
	v_sub_f32_e32 v35, v13, v11
	v_add_f32_e32 v39, v3, v13
	v_add_f32_e32 v13, v13, v11
	;; [unrolled: 1-line block ×3, first 2 shown]
	v_dual_add_f32 v43, v5, v15 :: v_dual_add_f32 v28, v6, v8
	v_sub_f32_e32 v32, v6, v8
	v_fma_f32 v1, -0.5, v31, v1
	v_dual_fmac_f32 v3, -0.5, v13 :: v_dual_add_f32 v26, v0, v6
	v_add_f32_e32 v7, v30, v9
	v_add_f32_e32 v9, v39, v11
	;; [unrolled: 1-line block ×3, first 2 shown]
	v_dual_sub_f32 v42, v15, v17 :: v_dual_fmamk_f32 v13, v32, 0xbf5db3d7, v1
	v_dual_add_f32 v15, v15, v17 :: v_dual_add_f32 v34, v12, v10
	v_add_f32_e32 v41, v14, v16
	v_dual_add_f32 v33, v2, v12 :: v_dual_sub_f32 v40, v12, v10
	v_dual_fmac_f32 v1, 0x3f5db3d7, v32 :: v_dual_add_f32 v12, v4, v14
	v_fma_f32 v0, -0.5, v28, v0
	v_fmac_f32_e32 v5, -0.5, v15
	v_fma_f32 v2, -0.5, v34, v2
	v_dual_sub_f32 v44, v14, v16 :: v_dual_fmamk_f32 v15, v40, 0xbf5db3d7, v3
	v_fma_f32 v4, -0.5, v41, v4
	v_add_f32_e32 v6, v26, v8
	v_dual_add_f32 v8, v33, v10 :: v_dual_fmac_f32 v3, 0x3f5db3d7, v40
	v_add_f32_e32 v10, v12, v16
	v_fmamk_f32 v12, v29, 0x3f5db3d7, v0
	v_fmac_f32_e32 v0, 0xbf5db3d7, v29
	v_fmamk_f32 v14, v35, 0x3f5db3d7, v2
	v_fmac_f32_e32 v2, 0xbf5db3d7, v35
	v_fmamk_f32 v16, v42, 0x3f5db3d7, v4
	v_dual_fmamk_f32 v17, v44, 0xbf5db3d7, v5 :: v_dual_fmac_f32 v4, 0xbf5db3d7, v42
	v_fmac_f32_e32 v5, 0x3f5db3d7, v44
	ds_store_2addr_b64 v95, v[6:7], v[12:13] offset1:1
	ds_store_b64 v95, v[0:1] offset:16
	ds_store_2addr_b64 v97, v[8:9], v[14:15] offset1:1
	ds_store_b64 v97, v[2:3] offset:16
	;; [unrolled: 2-line block ×3, first 2 shown]
	v_lshlrev_b32_e32 v8, 3, v24
	s_waitcnt lgkmcnt(0)
	s_barrier
	buffer_gl0_inv
	s_clause 0x2
	global_load_b128 v[0:3], v20, s[10:11]
	global_load_b128 v[4:7], v19, s[10:11]
	;; [unrolled: 1-line block ×3, first 2 shown]
	v_mul_lo_u16 v12, v38, 57
	v_mad_u16 v20, v22, 9, v27
	v_mul_u32_u24_e32 v13, 0xe38f, v50
	ds_load_b64 v[29:30], v88 offset:15552
	ds_load_2addr_b64 v[16:19], v90 offset0:2 offset1:245
	v_lshrrev_b16 v24, 9, v12
	v_mul_u32_u24_e32 v12, 0xe38f, v37
	v_and_b32_e32 v28, 0xffff, v20
	v_lshrrev_b32_e32 v34, 19, v13
	v_and_b32_e32 v25, 0xffff, v25
	v_mul_lo_u16 v14, v24, 9
	v_lshrrev_b32_e32 v33, 19, v12
	v_and_b32_e32 v12, 0xffff, v23
	v_mul_lo_u16 v15, v34, 9
	s_delay_alu instid0(VALU_DEP_4) | instskip(NEXT) | instid1(VALU_DEP_4)
	v_sub_nc_u16 v13, v36, v14
	v_mul_lo_u16 v14, v33, 9
	s_delay_alu instid0(VALU_DEP_4) | instskip(NEXT) | instid1(VALU_DEP_4)
	v_mul_u32_u24_e32 v12, 9, v12
	v_sub_nc_u16 v40, v49, v15
	s_delay_alu instid0(VALU_DEP_4) | instskip(NEXT) | instid1(VALU_DEP_4)
	v_and_b32_e32 v35, 0xff, v13
	v_sub_nc_u16 v39, v48, v14
	s_delay_alu instid0(VALU_DEP_4)
	v_add_lshl_u32 v96, v12, v21, 3
	ds_load_2addr_b64 v[20:23], v89 offset0:12 offset1:255
	ds_load_2addr_b64 v[12:15], v91 offset0:6 offset1:249
	v_lshlrev_b16 v27, 4, v40
	v_lshlrev_b16 v26, 4, v39
	v_lshlrev_b32_e32 v41, 4, v35
	s_waitcnt vmcnt(0) lgkmcnt(1)
	v_dual_mul_f32 v46, v16, v3 :: v_dual_mul_f32 v55, v22, v9
	s_delay_alu instid0(VALU_DEP_3) | instskip(SKIP_1) | instid1(VALU_DEP_3)
	v_dual_mul_f32 v51, v20, v5 :: v_dual_and_b32 v26, 0xffff, v26
	v_dual_mul_f32 v53, v18, v7 :: v_dual_lshlrev_b32 v100, 3, v25
	v_dual_fmac_f32 v55, v23, v8 :: v_dual_and_b32 v42, 0xffff, v27
	v_mul_f32_e32 v57, v29, v11
	v_lshlrev_b32_e32 v99, 3, v28
	s_delay_alu instid0(VALU_DEP_4)
	v_fmac_f32_e32 v53, v19, v6
	v_fmac_f32_e32 v51, v21, v4
	v_add_co_u32 v31, s2, s10, v26
	ds_load_2addr_b64 v[25:28], v88 offset1:243
	s_waitcnt lgkmcnt(1)
	v_mul_f32_e32 v43, v15, v1
	v_dual_mul_f32 v44, v14, v1 :: v_dual_mul_f32 v45, v17, v3
	v_dual_mul_f32 v47, v21, v5 :: v_dual_mul_f32 v52, v19, v7
	v_fmac_f32_e32 v57, v30, v10
	s_delay_alu instid0(VALU_DEP_4)
	v_fma_f32 v14, v14, v0, -v43
	v_add_f32_e32 v59, v13, v55
	v_add_co_ci_u32_e64 v32, null, s11, 0, s2
	v_fma_f32 v18, v18, v6, -v52
	v_sub_f32_e32 v58, v55, v57
	v_add_f32_e32 v55, v55, v57
	s_waitcnt lgkmcnt(0)
	s_barrier
	buffer_gl0_inv
	v_fmac_f32_e32 v13, -0.5, v55
	v_dual_add_f32 v19, v25, v14 :: v_dual_fmac_f32 v44, v15, v0
	v_fma_f32 v15, v16, v2, -v45
	v_fma_f32 v16, v20, v4, -v47
	v_dual_add_f32 v47, v28, v51 :: v_dual_mul_f32 v54, v23, v9
	s_delay_alu instid0(VALU_DEP_3) | instskip(NEXT) | instid1(VALU_DEP_3)
	v_dual_fmac_f32 v46, v17, v2 :: v_dual_add_f32 v21, v14, v15
	v_dual_add_f32 v43, v27, v16 :: v_dual_mul_f32 v56, v30, v11
	s_delay_alu instid0(VALU_DEP_3) | instskip(NEXT) | instid1(VALU_DEP_3)
	v_fma_f32 v17, v22, v8, -v54
	v_dual_sub_f32 v23, v44, v46 :: v_dual_add_f32 v22, v26, v44
	v_dual_sub_f32 v30, v14, v15 :: v_dual_sub_f32 v45, v51, v53
	s_delay_alu instid0(VALU_DEP_4) | instskip(SKIP_3) | instid1(VALU_DEP_4)
	v_fma_f32 v20, v29, v10, -v56
	v_add_f32_e32 v29, v44, v46
	v_dual_add_f32 v44, v16, v18 :: v_dual_add_f32 v51, v51, v53
	v_sub_f32_e32 v52, v16, v18
	v_add_f32_e32 v56, v17, v20
	v_add_f32_e32 v54, v12, v17
	v_sub_f32_e32 v60, v17, v20
	v_fma_f32 v16, -0.5, v21, v25
	v_fma_f32 v17, -0.5, v29, v26
	;; [unrolled: 1-line block ×3, first 2 shown]
	v_dual_fmac_f32 v28, -0.5, v51 :: v_dual_add_f32 v21, v59, v57
	v_fma_f32 v12, -0.5, v56, v12
	v_dual_add_f32 v14, v19, v15 :: v_dual_add_f32 v15, v22, v46
	v_add_f32_e32 v19, v47, v53
	v_fmamk_f32 v22, v23, 0x3f5db3d7, v16
	v_dual_fmac_f32 v16, 0xbf5db3d7, v23 :: v_dual_fmamk_f32 v23, v30, 0xbf5db3d7, v17
	v_dual_add_f32 v20, v54, v20 :: v_dual_fmac_f32 v17, 0x3f5db3d7, v30
	v_dual_add_f32 v18, v43, v18 :: v_dual_fmamk_f32 v25, v45, 0x3f5db3d7, v27
	v_dual_fmamk_f32 v26, v52, 0xbf5db3d7, v28 :: v_dual_fmac_f32 v27, 0xbf5db3d7, v45
	v_fmac_f32_e32 v28, 0x3f5db3d7, v52
	v_fmamk_f32 v29, v58, 0x3f5db3d7, v12
	v_fmamk_f32 v30, v60, 0xbf5db3d7, v13
	v_fmac_f32_e32 v12, 0xbf5db3d7, v58
	v_fmac_f32_e32 v13, 0x3f5db3d7, v60
	ds_store_2addr_b64 v96, v[14:15], v[22:23] offset1:3
	ds_store_b64 v96, v[16:17] offset:48
	ds_store_2addr_b64 v99, v[18:19], v[25:26] offset1:3
	ds_store_b64 v99, v[27:28] offset:48
	;; [unrolled: 2-line block ×3, first 2 shown]
	v_add_co_u32 v20, s2, s10, v42
	s_delay_alu instid0(VALU_DEP_1)
	v_add_co_ci_u32_e64 v21, null, s11, 0, s2
	s_waitcnt lgkmcnt(0)
	s_barrier
	buffer_gl0_inv
	s_clause 0x2
	global_load_b128 v[12:15], v41, s[10:11] offset:48
	global_load_b128 v[16:19], v[31:32], off offset:48
	global_load_b128 v[20:23], v[20:21], off offset:48
	v_mul_u32_u24_e32 v26, 0x2f69, v50
	v_mul_u32_u24_e32 v25, 0x2f69, v37
	v_mul_lo_u16 v28, v38, 19
	ds_load_b64 v[43:44], v88 offset:15552
	v_mad_u16 v32, v34, 27, v40
	v_lshrrev_b32_e32 v26, 16, v26
	v_lshrrev_b32_e32 v25, 16, v25
	v_lshrrev_b16 v47, 9, v28
	v_mul_lo_u16 v38, 0xcb, v38
	v_mul_u32_u24_e32 v37, 0x6523, v37
	v_sub_nc_u16 v29, v49, v26
	v_sub_nc_u16 v27, v48, v25
	s_delay_alu instid0(VALU_DEP_2) | instskip(NEXT) | instid1(VALU_DEP_2)
	v_lshrrev_b16 v28, 1, v29
	v_lshrrev_b16 v27, 1, v27
	s_delay_alu instid0(VALU_DEP_2)
	v_add_nc_u16 v26, v28, v26
	ds_load_2addr_b64 v[28:31], v89 offset0:12 offset1:255
	v_add_nc_u16 v25, v27, v25
	v_mul_lo_u16 v27, v47, 27
	v_and_b32_e32 v24, 0xffff, v24
	v_lshrrev_b16 v53, 4, v26
	s_delay_alu instid0(VALU_DEP_4) | instskip(NEXT) | instid1(VALU_DEP_4)
	v_lshrrev_b16 v52, 4, v25
	v_sub_nc_u16 v25, v36, v27
	s_delay_alu instid0(VALU_DEP_3) | instskip(NEXT) | instid1(VALU_DEP_3)
	v_mul_lo_u16 v27, v53, 27
	v_mul_lo_u16 v26, v52, 27
	s_delay_alu instid0(VALU_DEP_3) | instskip(SKIP_1) | instid1(VALU_DEP_4)
	v_and_b32_e32 v54, 0xff, v25
	v_mad_u16 v25, v33, 27, v39
	v_sub_nc_u16 v56, v49, v27
	v_and_b32_e32 v39, 0xffff, v32
	v_sub_nc_u16 v55, v48, v26
	s_delay_alu instid0(VALU_DEP_4) | instskip(NEXT) | instid1(VALU_DEP_4)
	v_and_b32_e32 v33, 0xffff, v25
	v_lshlrev_b16 v40, 4, v56
	s_delay_alu instid0(VALU_DEP_3) | instskip(NEXT) | instid1(VALU_DEP_2)
	v_lshlrev_b16 v34, 4, v55
	v_and_b32_e32 v57, 0xffff, v40
	s_waitcnt vmcnt(1) lgkmcnt(0)
	v_mul_f32_e32 v61, v28, v17
	s_waitcnt vmcnt(0)
	v_mul_f32_e32 v64, v31, v21
	v_mul_u32_u24_e32 v24, 27, v24
	v_mul_f32_e32 v60, v29, v17
	v_dual_mul_f32 v65, v30, v21 :: v_dual_lshlrev_b32 v102, 3, v39
	v_mul_f32_e32 v104, v44, v23
	s_delay_alu instid0(VALU_DEP_4)
	v_add_lshl_u32 v101, v24, v35, 3
	ds_load_2addr_b64 v[24:27], v90 offset0:2 offset1:245
	v_and_b32_e32 v41, 0xffff, v34
	v_mul_f32_e32 v105, v43, v23
	s_waitcnt lgkmcnt(0)
	v_dual_mul_f32 v62, v27, v19 :: v_dual_lshlrev_b32 v51, 4, v54
	v_dual_mul_f32 v58, v25, v15 :: v_dual_lshlrev_b32 v103, 3, v33
	ds_load_2addr_b64 v[32:35], v91 offset0:6 offset1:249
	v_add_co_u32 v45, s2, s10, v41
	ds_load_2addr_b64 v[39:42], v88 offset1:243
	v_mul_f32_e32 v59, v24, v15
	v_mul_f32_e32 v63, v26, v19
	v_fma_f32 v62, v26, v18, -v62
	v_fma_f32 v58, v24, v14, -v58
	;; [unrolled: 1-line block ×3, first 2 shown]
	v_fmac_f32_e32 v59, v25, v14
	v_fmac_f32_e32 v61, v29, v16
	;; [unrolled: 1-line block ×3, first 2 shown]
	v_fma_f32 v25, v30, v20, -v64
	v_fmac_f32_e32 v65, v31, v20
	v_fma_f32 v30, v43, v22, -v104
	v_add_co_ci_u32_e64 v46, null, s11, 0, s2
	s_waitcnt lgkmcnt(0)
	s_barrier
	s_delay_alu instid0(VALU_DEP_2)
	v_sub_f32_e32 v108, v25, v30
	v_mul_f32_e32 v66, v35, v13
	v_mul_f32_e32 v67, v34, v13
	v_add_f32_e32 v106, v32, v25
	buffer_gl0_inv
	v_fma_f32 v26, v34, v12, -v66
	v_add_f32_e32 v34, v42, v61
	v_dual_sub_f32 v60, v61, v63 :: v_dual_fmac_f32 v67, v35, v12
	v_add_f32_e32 v35, v41, v24
	s_delay_alu instid0(VALU_DEP_4)
	v_add_f32_e32 v29, v39, v26
	v_add_f32_e32 v66, v24, v62
	v_dual_fmac_f32 v105, v44, v22 :: v_dual_add_f32 v64, v33, v65
	v_add_f32_e32 v27, v26, v58
	v_sub_f32_e32 v44, v26, v58
	v_add_f32_e32 v28, v67, v59
	s_delay_alu instid0(VALU_DEP_4)
	v_dual_sub_f32 v104, v65, v105 :: v_dual_add_f32 v31, v40, v67
	v_dual_sub_f32 v43, v67, v59 :: v_dual_add_f32 v26, v29, v58
	v_add_f32_e32 v107, v25, v30
	v_dual_add_f32 v30, v106, v30 :: v_dual_add_f32 v61, v61, v63
	v_fma_f32 v25, -0.5, v28, v40
	v_add_f32_e32 v28, v35, v62
	v_sub_f32_e32 v67, v24, v62
	v_fma_f32 v24, -0.5, v27, v39
	v_fmac_f32_e32 v42, -0.5, v61
	v_add_f32_e32 v65, v65, v105
	v_fma_f32 v41, -0.5, v66, v41
	s_delay_alu instid0(VALU_DEP_4) | instskip(NEXT) | instid1(VALU_DEP_3)
	v_dual_add_f32 v29, v34, v63 :: v_dual_fmamk_f32 v34, v43, 0x3f5db3d7, v24
	v_dual_fmamk_f32 v40, v67, 0xbf5db3d7, v42 :: v_dual_fmac_f32 v33, -0.5, v65
	v_fmac_f32_e32 v24, 0xbf5db3d7, v43
	v_fma_f32 v32, -0.5, v107, v32
	v_add_f32_e32 v27, v31, v59
	v_fmamk_f32 v35, v44, 0xbf5db3d7, v25
	v_fmac_f32_e32 v25, 0x3f5db3d7, v44
	v_fmamk_f32 v39, v60, 0x3f5db3d7, v41
	v_dual_add_f32 v31, v64, v105 :: v_dual_fmac_f32 v42, 0x3f5db3d7, v67
	v_fmac_f32_e32 v41, 0xbf5db3d7, v60
	v_fmamk_f32 v43, v104, 0x3f5db3d7, v32
	v_fmac_f32_e32 v32, 0xbf5db3d7, v104
	v_fmamk_f32 v44, v108, 0xbf5db3d7, v33
	v_fmac_f32_e32 v33, 0x3f5db3d7, v108
	ds_store_2addr_b64 v101, v[26:27], v[34:35] offset1:9
	ds_store_b64 v101, v[24:25] offset:144
	ds_store_2addr_b64 v103, v[28:29], v[39:40] offset1:9
	ds_store_b64 v103, v[41:42] offset:144
	;; [unrolled: 2-line block ×3, first 2 shown]
	v_add_co_u32 v32, s2, s10, v57
	s_delay_alu instid0(VALU_DEP_1)
	v_add_co_ci_u32_e64 v33, null, s11, 0, s2
	s_waitcnt lgkmcnt(0)
	s_barrier
	buffer_gl0_inv
	s_clause 0x2
	global_load_b128 v[24:27], v51, s[10:11] offset:192
	global_load_b128 v[28:31], v[45:46], off offset:192
	global_load_b128 v[32:35], v[32:33], off offset:192
	v_lshrrev_b16 v51, 14, v38
	v_mul_u32_u24_e32 v38, 0x6523, v50
	v_lshrrev_b32_e32 v60, 21, v37
	v_mad_u16 v45, 0x51, v52, v55
	v_mad_u16 v46, 0x51, v53, v56
	v_mul_lo_u16 v39, 0x51, v51
	v_lshrrev_b32_e32 v61, 21, v38
	v_mul_lo_u16 v38, 0x51, v60
	v_mul_u32_u24_e32 v50, 0xdb3, v50
	s_delay_alu instid0(VALU_DEP_4) | instskip(NEXT) | instid1(VALU_DEP_4)
	v_sub_nc_u16 v36, v36, v39
	v_mul_lo_u16 v39, 0x51, v61
	s_delay_alu instid0(VALU_DEP_4) | instskip(NEXT) | instid1(VALU_DEP_4)
	v_sub_nc_u16 v63, v48, v38
	v_lshrrev_b32_e32 v50, 16, v50
	s_delay_alu instid0(VALU_DEP_4) | instskip(NEXT) | instid1(VALU_DEP_4)
	v_and_b32_e32 v62, 0xff, v36
	v_sub_nc_u16 v64, v49, v39
	s_delay_alu instid0(VALU_DEP_4) | instskip(NEXT) | instid1(VALU_DEP_3)
	v_lshlrev_b16 v40, 4, v63
	v_lshlrev_b32_e32 v65, 4, v62
	s_delay_alu instid0(VALU_DEP_3) | instskip(NEXT) | instid1(VALU_DEP_3)
	v_lshlrev_b16 v44, 4, v64
	v_and_b32_e32 v52, 0xffff, v40
	ds_load_2addr_b64 v[40:43], v89 offset0:12 offset1:255
	s_waitcnt vmcnt(1) lgkmcnt(0)
	v_mul_f32_e32 v111, v40, v29
	v_mul_f32_e32 v110, v41, v29
	s_waitcnt vmcnt(0)
	s_delay_alu instid0(VALU_DEP_2) | instskip(SKIP_1) | instid1(VALU_DEP_1)
	v_dual_mul_f32 v112, v43, v33 :: v_dual_fmac_f32 v111, v41, v28
	v_and_b32_e32 v37, 0xffff, v47
	v_mul_u32_u24_e32 v37, 0x51, v37
	s_delay_alu instid0(VALU_DEP_1)
	v_add_lshl_u32 v104, v37, v54, 3
	ds_load_2addr_b64 v[36:39], v90 offset0:2 offset1:245
	v_and_b32_e32 v66, 0xffff, v44
	s_waitcnt lgkmcnt(0)
	v_dual_mul_f32 v109, v38, v31 :: v_dual_and_b32 v54, 0xffff, v46
	v_mul_f32_e32 v67, v37, v27
	v_mul_f32_e32 v107, v36, v27
	;; [unrolled: 1-line block ×3, first 2 shown]
	v_add_co_u32 v58, s2, s10, v52
	s_delay_alu instid0(VALU_DEP_4) | instskip(SKIP_1) | instid1(VALU_DEP_4)
	v_fma_f32 v67, v36, v26, -v67
	v_fma_f32 v36, v40, v28, -v110
	;; [unrolled: 1-line block ×3, first 2 shown]
	v_fmac_f32_e32 v107, v37, v26
	v_and_b32_e32 v53, 0xffff, v45
	ds_load_2addr_b64 v[44:47], v91 offset0:6 offset1:249
	ds_load_b64 v[56:57], v88 offset:15552
	v_fma_f32 v37, v42, v32, -v112
	v_add_f32_e32 v112, v36, v108
	v_add_co_ci_u32_e64 v59, null, s11, 0, s2
	s_waitcnt lgkmcnt(1)
	v_mul_f32_e32 v115, v46, v25
	v_mul_f32_e32 v114, v47, v25
	s_waitcnt lgkmcnt(0)
	s_delay_alu instid0(VALU_DEP_2) | instskip(SKIP_1) | instid1(VALU_DEP_3)
	v_dual_mul_f32 v116, v57, v35 :: v_dual_fmac_f32 v115, v47, v24
	v_lshlrev_b32_e32 v105, 3, v54
	v_fma_f32 v38, v46, v24, -v114
	s_delay_alu instid0(VALU_DEP_3)
	v_add_f32_e32 v40, v115, v107
	v_lshlrev_b32_e32 v106, 3, v53
	ds_load_2addr_b64 v[52:55], v88 offset1:243
	v_mul_f32_e32 v113, v42, v33
	v_fma_f32 v42, v56, v34, -v116
	v_sub_f32_e32 v116, v36, v108
	s_waitcnt lgkmcnt(0)
	s_barrier
	buffer_gl0_inv
	v_add_f32_e32 v119, v37, v42
	v_sub_f32_e32 v120, v37, v42
	v_dual_add_f32 v46, v55, v111 :: v_dual_add_f32 v47, v54, v36
	v_fma_f32 v54, -0.5, v112, v54
	v_fmac_f32_e32 v113, v43, v32
	v_mul_f32_e32 v117, v56, v35
	v_sub_f32_e32 v56, v115, v107
	v_add_f32_e32 v41, v53, v115
	v_add_f32_e32 v115, v44, v37
	;; [unrolled: 1-line block ×3, first 2 shown]
	v_fmac_f32_e32 v117, v57, v34
	v_fma_f32 v37, -0.5, v40, v53
	v_add_f32_e32 v40, v47, v108
	v_fmac_f32_e32 v109, v39, v30
	v_dual_add_f32 v39, v38, v67 :: v_dual_add_f32 v42, v115, v42
	v_sub_f32_e32 v118, v113, v117
	v_fma_f32 v44, -0.5, v119, v44
	v_add_f32_e32 v43, v52, v38
	s_delay_alu instid0(VALU_DEP_4) | instskip(SKIP_3) | instid1(VALU_DEP_4)
	v_fma_f32 v36, -0.5, v39, v52
	v_sub_f32_e32 v57, v38, v67
	v_add_f32_e32 v39, v41, v107
	v_dual_add_f32 v41, v46, v109 :: v_dual_lshlrev_b32 v112, 4, v87
	v_fmamk_f32 v46, v56, 0x3f5db3d7, v36
	v_fmac_f32_e32 v36, 0xbf5db3d7, v56
	v_fmamk_f32 v56, v118, 0x3f5db3d7, v44
	v_add_f32_e32 v38, v43, v67
	v_sub_f32_e32 v110, v111, v109
	v_add_f32_e32 v111, v111, v109
	v_dual_add_f32 v43, v114, v117 :: v_dual_fmac_f32 v44, 0xbf5db3d7, v118
	s_delay_alu instid0(VALU_DEP_3) | instskip(NEXT) | instid1(VALU_DEP_3)
	v_dual_fmamk_f32 v52, v110, 0x3f5db3d7, v54 :: v_dual_add_f32 v113, v113, v117
	v_dual_fmac_f32 v55, -0.5, v111 :: v_dual_fmac_f32 v54, 0xbf5db3d7, v110
	v_fmamk_f32 v47, v57, 0xbf5db3d7, v37
	v_fmac_f32_e32 v37, 0x3f5db3d7, v57
	s_delay_alu instid0(VALU_DEP_4) | instskip(NEXT) | instid1(VALU_DEP_4)
	v_fmac_f32_e32 v45, -0.5, v113
	v_fmamk_f32 v53, v116, 0xbf5db3d7, v55
	v_fmac_f32_e32 v55, 0x3f5db3d7, v116
	s_delay_alu instid0(VALU_DEP_3)
	v_fmamk_f32 v57, v120, 0xbf5db3d7, v45
	v_fmac_f32_e32 v45, 0x3f5db3d7, v120
	ds_store_2addr_b64 v104, v[38:39], v[46:47] offset1:27
	ds_store_b64 v104, v[36:37] offset:432
	ds_store_2addr_b64 v106, v[40:41], v[52:53] offset1:27
	ds_store_b64 v106, v[54:55] offset:432
	;; [unrolled: 2-line block ×3, first 2 shown]
	v_add_co_u32 v44, s2, s10, v66
	s_delay_alu instid0(VALU_DEP_1)
	v_add_co_ci_u32_e64 v45, null, s11, 0, s2
	s_waitcnt lgkmcnt(0)
	s_barrier
	buffer_gl0_inv
	s_clause 0x2
	global_load_b128 v[36:39], v65, s[10:11] offset:624
	global_load_b128 v[40:43], v[58:59], off offset:624
	global_load_b128 v[44:47], v[44:45], off offset:624
	v_sub_nc_u16 v52, v49, v50
	v_and_b32_e32 v58, 0xffff, v51
	v_mad_u16 v59, 0xf3, v60, v63
	v_mad_u16 v60, 0xf3, v61, v64
	ds_load_b64 v[66:67], v88 offset:15552
	v_lshrrev_b16 v52, 1, v52
	v_mul_u32_u24_e32 v63, 0xf3, v58
	v_and_b32_e32 v64, 0xffff, v59
	v_and_b32_e32 v65, 0xffff, v60
	ds_load_2addr_b64 v[58:61], v91 offset0:6 offset1:249
	v_add_nc_u16 v50, v52, v50
	v_add_lshl_u32 v109, v63, v62, 3
	v_lshlrev_b32_e32 v108, 3, v64
	s_delay_alu instid0(VALU_DEP_3) | instskip(NEXT) | instid1(VALU_DEP_1)
	v_lshrrev_b16 v50, 7, v50
	v_mul_lo_u16 v54, 0xf3, v50
	ds_load_2addr_b64 v[50:53], v90 offset0:2 offset1:245
	v_sub_nc_u16 v110, v49, v54
	ds_load_2addr_b64 v[54:57], v89 offset0:12 offset1:255
	v_lshlrev_b16 v111, 4, v110
	v_and_b32_e32 v110, 0xffff, v110
	s_delay_alu instid0(VALU_DEP_1)
	v_lshlrev_b32_e32 v110, 3, v110
	s_waitcnt vmcnt(1) lgkmcnt(1)
	v_mul_f32_e32 v116, v52, v43
	s_waitcnt vmcnt(0) lgkmcnt(0)
	v_mul_f32_e32 v120, v56, v45
	v_lshlrev_b32_e32 v107, 3, v65
	ds_load_2addr_b64 v[62:65], v88 offset1:243
	v_dual_mul_f32 v121, v61, v37 :: v_dual_mul_f32 v114, v50, v39
	v_mul_f32_e32 v117, v55, v41
	v_mul_f32_e32 v118, v54, v41
	;; [unrolled: 1-line block ×3, first 2 shown]
	v_fmac_f32_e32 v116, v53, v42
	v_fmac_f32_e32 v120, v57, v44
	v_mul_f32_e32 v115, v53, v43
	v_fma_f32 v53, v60, v36, -v121
	v_dual_mul_f32 v113, v51, v39 :: v_dual_mul_f32 v122, v60, v37
	v_fmac_f32_e32 v114, v51, v38
	v_fma_f32 v51, v54, v40, -v117
	v_fmac_f32_e32 v118, v55, v40
	s_delay_alu instid0(VALU_DEP_4)
	v_fma_f32 v50, v50, v38, -v113
	v_dual_fmac_f32 v124, v67, v46 :: v_dual_mul_f32 v119, v57, v45
	v_fma_f32 v113, v52, v42, -v115
	s_waitcnt lgkmcnt(0)
	v_dual_fmac_f32 v122, v61, v36 :: v_dual_add_f32 v57, v62, v53
	v_mul_f32_e32 v123, v67, v47
	v_fma_f32 v52, v56, v44, -v119
	v_add_f32_e32 v60, v53, v50
	v_add_f32_e32 v61, v65, v118
	v_sub_f32_e32 v115, v118, v116
	v_dual_add_f32 v117, v118, v116 :: v_dual_add_f32 v118, v64, v51
	v_sub_f32_e32 v67, v53, v50
	v_add_f32_e32 v50, v57, v50
	v_fma_f32 v56, v66, v46, -v123
	v_dual_sub_f32 v66, v122, v114 :: v_dual_and_b32 v111, 0xffff, v111
	v_sub_f32_e32 v123, v120, v124
	v_add_f32_e32 v125, v58, v52
	s_delay_alu instid0(VALU_DEP_4) | instskip(SKIP_2) | instid1(VALU_DEP_4)
	v_add_f32_e32 v126, v52, v56
	v_sub_f32_e32 v127, v52, v56
	v_fma_f32 v52, -0.5, v60, v62
	v_dual_add_f32 v55, v122, v114 :: v_dual_add_f32 v56, v125, v56
	s_delay_alu instid0(VALU_DEP_4) | instskip(SKIP_1) | instid1(VALU_DEP_4)
	v_fma_f32 v58, -0.5, v126, v58
	v_add_f32_e32 v54, v63, v122
	v_fmamk_f32 v60, v66, 0x3f5db3d7, v52
	v_fmac_f32_e32 v52, 0xbf5db3d7, v66
	v_add_f32_e32 v122, v59, v120
	v_fmamk_f32 v66, v123, 0x3f5db3d7, v58
	v_dual_add_f32 v119, v51, v113 :: v_dual_add_f32 v120, v120, v124
	v_fma_f32 v53, -0.5, v55, v63
	v_dual_sub_f32 v121, v51, v113 :: v_dual_fmac_f32 v58, 0xbf5db3d7, v123
	s_delay_alu instid0(VALU_DEP_3) | instskip(NEXT) | instid1(VALU_DEP_4)
	v_fma_f32 v64, -0.5, v119, v64
	v_fmac_f32_e32 v59, -0.5, v120
	v_add_f32_e32 v51, v54, v114
	v_dual_add_f32 v55, v61, v116 :: v_dual_add_f32 v54, v118, v113
	s_delay_alu instid0(VALU_DEP_4) | instskip(SKIP_3) | instid1(VALU_DEP_4)
	v_dual_fmamk_f32 v62, v115, 0x3f5db3d7, v64 :: v_dual_fmac_f32 v65, -0.5, v117
	v_fmamk_f32 v61, v67, 0xbf5db3d7, v53
	v_fmac_f32_e32 v53, 0x3f5db3d7, v67
	v_dual_fmac_f32 v64, 0xbf5db3d7, v115 :: v_dual_add_f32 v57, v122, v124
	v_fmamk_f32 v63, v121, 0xbf5db3d7, v65
	v_fmac_f32_e32 v65, 0x3f5db3d7, v121
	v_fmamk_f32 v67, v127, 0xbf5db3d7, v59
	s_barrier
	buffer_gl0_inv
	v_fmac_f32_e32 v59, 0x3f5db3d7, v127
	ds_store_2addr_b64 v109, v[50:51], v[60:61] offset1:81
	ds_store_b64 v109, v[52:53] offset:1296
	ds_store_2addr_b64 v108, v[54:55], v[62:63] offset1:81
	ds_store_b64 v108, v[64:65] offset:1296
	;; [unrolled: 2-line block ×3, first 2 shown]
	v_add_co_u32 v50, s2, s10, v111
	s_delay_alu instid0(VALU_DEP_1)
	v_add_co_ci_u32_e64 v51, null, s11, 0, s2
	s_waitcnt lgkmcnt(0)
	s_barrier
	buffer_gl0_inv
	s_clause 0x1
	global_load_b128 v[60:63], v112, s[10:11] offset:1920
	global_load_b128 v[64:67], v[50:51], off offset:1920
	v_add_co_u32 v50, s2, s10, v112
	s_delay_alu instid0(VALU_DEP_1) | instskip(SKIP_1) | instid1(VALU_DEP_3)
	v_add_co_ci_u32_e64 v51, null, s11, 0, s2
	v_lshlrev_b32_e32 v52, 4, v48
	v_add_co_u32 v116, vcc_lo, 0x1000, v50
	v_lshlrev_b32_e32 v111, 4, v49
	s_delay_alu instid0(VALU_DEP_4)
	v_add_co_ci_u32_e32 v117, vcc_lo, 0, v51, vcc_lo
	ds_load_2addr_b64 v[48:51], v90 offset0:2 offset1:245
	v_add_co_u32 v112, s2, s10, v52
	ds_load_2addr_b64 v[52:55], v91 offset0:6 offset1:249
	ds_load_2addr_b64 v[56:59], v89 offset0:12 offset1:255
	v_add_co_ci_u32_e64 v113, null, s11, 0, s2
	v_add_co_u32 v120, vcc_lo, 0x1000, v112
	ds_load_b64 v[118:119], v88 offset:15552
	v_add_co_ci_u32_e32 v121, vcc_lo, 0, v113, vcc_lo
	ds_load_2addr_b64 v[112:115], v88 offset1:243
	s_waitcnt vmcnt(0) lgkmcnt(0)
	s_barrier
	buffer_gl0_inv
	v_mul_f32_e32 v124, v49, v63
	v_mul_f32_e32 v126, v51, v63
	;; [unrolled: 1-line block ×4, first 2 shown]
	v_dual_mul_f32 v127, v50, v63 :: v_dual_mul_f32 v132, v59, v65
	v_mul_f32_e32 v128, v55, v61
	s_delay_alu instid0(VALU_DEP_3)
	v_dual_mul_f32 v134, v118, v67 :: v_dual_fmac_f32 v133, v59, v64
	v_mul_f32_e32 v125, v48, v63
	v_fma_f32 v48, v48, v62, -v124
	v_fma_f32 v124, v50, v62, -v126
	;; [unrolled: 1-line block ×3, first 2 shown]
	v_dual_mul_f32 v131, v56, v61 :: v_dual_fmac_f32 v134, v119, v66
	s_delay_alu instid0(VALU_DEP_2) | instskip(SKIP_1) | instid1(VALU_DEP_2)
	v_add_f32_e32 v130, v50, v124
	v_add_f32_e32 v59, v114, v50
	v_fma_f32 v114, -0.5, v130, v114
	v_fmac_f32_e32 v127, v51, v62
	v_fma_f32 v51, v58, v64, -v132
	v_mul_f32_e32 v129, v54, v61
	v_add_f32_e32 v132, v53, v133
	v_fmac_f32_e32 v125, v49, v62
	v_fma_f32 v49, v54, v60, -v128
	v_add_f32_e32 v136, v52, v51
	v_mul_f32_e32 v135, v119, v67
	v_fmac_f32_e32 v129, v55, v60
	s_delay_alu instid0(VALU_DEP_4) | instskip(SKIP_1) | instid1(VALU_DEP_4)
	v_add_f32_e32 v58, v49, v48
	v_sub_f32_e32 v119, v49, v48
	v_fma_f32 v56, v118, v66, -v135
	v_sub_f32_e32 v135, v133, v134
	v_add_f32_e32 v54, v113, v129
	s_delay_alu instid0(VALU_DEP_3) | instskip(SKIP_2) | instid1(VALU_DEP_3)
	v_dual_sub_f32 v118, v129, v125 :: v_dual_add_f32 v137, v51, v56
	v_sub_f32_e32 v138, v51, v56
	v_add_f32_e32 v56, v136, v56
	v_fma_f32 v52, -0.5, v137, v52
	v_fmac_f32_e32 v131, v57, v60
	s_delay_alu instid0(VALU_DEP_1)
	v_dual_add_f32 v57, v112, v49 :: v_dual_add_f32 v126, v115, v131
	v_add_co_u32 v122, s2, s10, v111
	v_dual_sub_f32 v128, v131, v127 :: v_dual_add_nc_u32 v111, 0x2d80, v110
	v_add_f32_e32 v55, v129, v125
	v_add_f32_e32 v129, v131, v127
	v_sub_f32_e32 v131, v50, v124
	v_fma_f32 v50, -0.5, v58, v112
	v_fmamk_f32 v112, v128, 0x3f5db3d7, v114
	v_fmac_f32_e32 v114, 0xbf5db3d7, v128
	v_fma_f32 v51, -0.5, v55, v113
	s_delay_alu instid0(VALU_DEP_4)
	v_dual_fmac_f32 v115, -0.5, v129 :: v_dual_fmamk_f32 v58, v118, 0x3f5db3d7, v50
	v_fmac_f32_e32 v50, 0xbf5db3d7, v118
	v_fmamk_f32 v118, v135, 0x3f5db3d7, v52
	v_dual_fmac_f32 v52, 0xbf5db3d7, v135 :: v_dual_add_f32 v133, v133, v134
	v_dual_add_f32 v49, v54, v125 :: v_dual_add_f32 v48, v57, v48
	v_add_f32_e32 v54, v59, v124
	v_fmamk_f32 v59, v119, 0xbf5db3d7, v51
	s_delay_alu instid0(VALU_DEP_4)
	v_fmac_f32_e32 v53, -0.5, v133
	v_add_f32_e32 v55, v126, v127
	v_fmac_f32_e32 v51, 0x3f5db3d7, v119
	v_add_co_ci_u32_e64 v123, null, s11, 0, s2
	v_fmamk_f32 v113, v131, 0xbf5db3d7, v115
	v_fmac_f32_e32 v115, 0x3f5db3d7, v131
	v_add_f32_e32 v57, v132, v134
	v_fmamk_f32 v119, v138, 0xbf5db3d7, v53
	v_fmac_f32_e32 v53, 0x3f5db3d7, v138
	ds_store_2addr_b64 v88, v[48:49], v[58:59] offset1:243
	ds_store_2addr_b64 v91, v[50:51], v[54:55] offset0:6 offset1:249
	ds_store_2addr_b64 v89, v[112:113], v[114:115] offset0:12 offset1:255
	;; [unrolled: 1-line block ×3, first 2 shown]
	ds_store_b64 v110, v[52:53] offset:15552
	v_add_co_u32 v56, vcc_lo, 0x1000, v122
	v_add_co_ci_u32_e32 v57, vcc_lo, 0, v123, vcc_lo
	s_waitcnt lgkmcnt(0)
	s_barrier
	buffer_gl0_inv
	s_clause 0x2
	global_load_b128 v[52:55], v[116:117], off offset:1712
	global_load_b128 v[48:51], v[120:121], off offset:1712
	;; [unrolled: 1-line block ×3, first 2 shown]
	ds_load_2addr_b64 v[112:115], v90 offset0:2 offset1:245
	ds_load_2addr_b64 v[116:119], v89 offset0:12 offset1:255
	;; [unrolled: 1-line block ×3, first 2 shown]
	ds_load_b64 v[128:129], v88 offset:15552
	ds_load_2addr_b64 v[124:127], v88 offset1:243
	s_mov_b32 s2, 0x80feb65f
	s_mov_b32 s3, 0x3f3df756
	s_waitcnt vmcnt(2) lgkmcnt(4)
	v_mul_f32_e32 v130, v113, v55
	s_waitcnt vmcnt(1)
	v_mul_f32_e32 v133, v114, v51
	v_mul_f32_e32 v131, v112, v55
	;; [unrolled: 1-line block ×3, first 2 shown]
	s_waitcnt lgkmcnt(3)
	v_mul_f32_e32 v134, v117, v49
	s_waitcnt lgkmcnt(2)
	v_mul_f32_e32 v138, v123, v53
	v_fmac_f32_e32 v133, v115, v50
	s_waitcnt vmcnt(0) lgkmcnt(1)
	v_mul_f32_e32 v115, v129, v59
	v_fma_f32 v112, v112, v54, -v130
	v_fmac_f32_e32 v131, v113, v54
	v_mul_f32_e32 v113, v122, v53
	v_mul_f32_e32 v136, v119, v57
	v_fma_f32 v130, v128, v58, -v115
	v_mul_f32_e32 v135, v116, v49
	v_mul_f32_e32 v137, v118, v57
	v_fma_f32 v114, v114, v50, -v132
	v_mul_f32_e32 v132, v128, v59
	v_fma_f32 v116, v116, v48, -v134
	v_fmac_f32_e32 v135, v117, v48
	v_fmac_f32_e32 v113, v123, v52
	v_fma_f32 v117, v122, v52, -v138
	v_fma_f32 v118, v118, v56, -v136
	v_dual_fmac_f32 v137, v119, v56 :: v_dual_fmac_f32 v132, v129, v58
	s_waitcnt lgkmcnt(0)
	v_add_f32_e32 v115, v125, v113
	v_add_f32_e32 v119, v113, v131
	v_dual_add_f32 v123, v124, v117 :: v_dual_add_f32 v128, v117, v112
	v_sub_f32_e32 v129, v117, v112
	v_dual_add_f32 v117, v126, v116 :: v_dual_sub_f32 v122, v113, v131
	v_add_f32_e32 v134, v127, v135
	v_sub_f32_e32 v136, v135, v133
	v_add_f32_e32 v135, v135, v133
	v_add_f32_e32 v113, v115, v131
	v_dual_add_f32 v112, v123, v112 :: v_dual_add_f32 v123, v116, v114
	v_sub_f32_e32 v131, v116, v114
	v_add_f32_e32 v138, v118, v130
	v_add_f32_e32 v114, v117, v114
	v_fma_f32 v117, -0.5, v119, v125
	v_add_f32_e32 v119, v137, v132
	v_fma_f32 v116, -0.5, v128, v124
	v_add_f32_e32 v115, v134, v133
	v_add_f32_e32 v133, v120, v118
	v_fma_f32 v126, -0.5, v123, v126
	v_add_f32_e32 v134, v121, v137
	v_sub_f32_e32 v125, v137, v132
	v_sub_f32_e32 v137, v118, v130
	v_fmac_f32_e32 v127, -0.5, v135
	v_fma_f32 v120, -0.5, v138, v120
	v_fmac_f32_e32 v121, -0.5, v119
	v_add_co_u32 v128, vcc_lo, 0x4000, v93
	v_fmamk_f32 v118, v122, 0x3f5db3d7, v116
	v_fmamk_f32 v119, v129, 0xbf5db3d7, v117
	v_fmac_f32_e32 v117, 0x3f5db3d7, v129
	v_add_co_ci_u32_e32 v129, vcc_lo, 0, v94, vcc_lo
	v_fmac_f32_e32 v116, 0xbf5db3d7, v122
	v_fmamk_f32 v122, v136, 0x3f5db3d7, v126
	v_dual_fmac_f32 v126, 0xbf5db3d7, v136 :: v_dual_fmamk_f32 v123, v131, 0xbf5db3d7, v127
	v_dual_fmac_f32 v127, 0x3f5db3d7, v131 :: v_dual_fmamk_f32 v124, v125, 0x3f5db3d7, v120
	;; [unrolled: 1-line block ×3, first 2 shown]
	v_dual_fmac_f32 v121, 0x3f5db3d7, v137 :: v_dual_add_f32 v130, v133, v130
	v_add_f32_e32 v131, v134, v132
	ds_store_b64 v88, v[118:119] offset:5832
	ds_store_b64 v88, v[116:117] offset:11664
	ds_store_2addr_b64 v88, v[112:113], v[114:115] offset1:243
	ds_store_2addr_b64 v92, v[126:127], v[120:121] offset0:5 offset1:248
	ds_store_2addr_b64 v89, v[122:123], v[124:125] offset0:12 offset1:255
	ds_store_b64 v88, v[130:131] offset:3888
	s_waitcnt lgkmcnt(0)
	s_barrier
	buffer_gl0_inv
	global_load_b64 v[116:117], v[128:129], off offset:1112
	v_add_co_u32 v112, vcc_lo, 0x4458, v93
	v_add_co_ci_u32_e32 v113, vcc_lo, 0, v94, vcc_lo
	v_add_co_u32 v114, vcc_lo, 0x5000, v93
	v_add_co_ci_u32_e32 v115, vcc_lo, 0, v94, vcc_lo
	s_clause 0x2
	global_load_b64 v[120:121], v[112:113], off offset:1944
	global_load_b64 v[122:123], v[114:115], off offset:2848
	;; [unrolled: 1-line block ×3, first 2 shown]
	v_add_co_u32 v112, vcc_lo, 0x8000, v93
	v_add_co_ci_u32_e32 v113, vcc_lo, 0, v94, vcc_lo
	global_load_b64 v[126:127], v[112:113], off offset:280
	v_add_co_u32 v112, vcc_lo, 0x6000, v93
	v_add_co_ci_u32_e32 v113, vcc_lo, 0, v94, vcc_lo
	v_add_co_u32 v93, vcc_lo, 0x7000, v93
	s_clause 0x1
	global_load_b64 v[128:129], v[112:113], off offset:696
	global_load_b64 v[130:131], v[112:113], off offset:2640
	v_add_co_ci_u32_e32 v94, vcc_lo, 0, v94, vcc_lo
	s_clause 0x1
	global_load_b64 v[132:133], v[93:94], off offset:488
	global_load_b64 v[93:94], v[93:94], off offset:2432
	ds_load_2addr_b64 v[112:115], v88 offset1:243
	ds_load_b64 v[136:137], v88 offset:15552
	s_waitcnt vmcnt(8) lgkmcnt(1)
	v_mul_f32_e32 v119, v113, v117
	v_mul_f32_e32 v118, v112, v117
	s_delay_alu instid0(VALU_DEP_2) | instskip(NEXT) | instid1(VALU_DEP_2)
	v_fma_f32 v117, v112, v116, -v119
	v_fmac_f32_e32 v118, v113, v116
	s_waitcnt vmcnt(7)
	v_mul_f32_e32 v112, v115, v121
	v_mul_f32_e32 v135, v114, v121
	ds_store_b64 v88, v[117:118]
	ds_load_2addr_b64 v[116:119], v91 offset0:6 offset1:249
	v_fma_f32 v134, v114, v120, -v112
	v_fmac_f32_e32 v135, v115, v120
	ds_load_2addr_b64 v[112:115], v89 offset0:12 offset1:255
	s_waitcnt vmcnt(6) lgkmcnt(1)
	v_mul_f32_e32 v138, v119, v123
	v_mul_f32_e32 v121, v118, v123
	s_waitcnt vmcnt(5)
	v_mul_f32_e32 v123, v116, v125
	s_delay_alu instid0(VALU_DEP_3) | instskip(NEXT) | instid1(VALU_DEP_3)
	v_fma_f32 v120, v118, v122, -v138
	v_dual_mul_f32 v118, v117, v125 :: v_dual_fmac_f32 v121, v119, v122
	s_delay_alu instid0(VALU_DEP_3) | instskip(SKIP_2) | instid1(VALU_DEP_3)
	v_fmac_f32_e32 v123, v117, v124
	s_waitcnt vmcnt(4)
	v_mul_f32_e32 v125, v136, v127
	v_fma_f32 v122, v116, v124, -v118
	ds_load_2addr_b64 v[116:119], v90 offset0:2 offset1:245
	s_waitcnt vmcnt(3) lgkmcnt(1)
	v_dual_mul_f32 v124, v137, v127 :: v_dual_mul_f32 v127, v112, v129
	v_fmac_f32_e32 v125, v137, v126
	s_waitcnt vmcnt(2)
	v_mul_f32_e32 v137, v115, v131
	s_delay_alu instid0(VALU_DEP_3) | instskip(SKIP_3) | instid1(VALU_DEP_3)
	v_fma_f32 v124, v136, v126, -v124
	v_dual_mul_f32 v136, v113, v129 :: v_dual_mul_f32 v129, v114, v131
	v_fmac_f32_e32 v127, v113, v128
	v_add_nc_u32_e32 v131, 0x1680, v88
	v_fma_f32 v126, v112, v128, -v136
	v_fma_f32 v128, v114, v130, -v137
	v_dual_fmac_f32 v129, v115, v130 :: v_dual_add_nc_u32 v136, 0x780, v88
	s_waitcnt vmcnt(1) lgkmcnt(0)
	v_mul_f32_e32 v112, v117, v133
	s_waitcnt vmcnt(0)
	v_dual_mul_f32 v113, v116, v133 :: v_dual_mul_f32 v114, v119, v94
	v_dual_mul_f32 v115, v118, v94 :: v_dual_add_nc_u32 v94, 0x25c0, v88
	s_delay_alu instid0(VALU_DEP_3) | instskip(NEXT) | instid1(VALU_DEP_3)
	v_fma_f32 v112, v116, v132, -v112
	v_fmac_f32_e32 v113, v117, v132
	s_delay_alu instid0(VALU_DEP_4) | instskip(NEXT) | instid1(VALU_DEP_4)
	v_fma_f32 v114, v118, v93, -v114
	v_fmac_f32_e32 v115, v119, v93
	ds_store_2addr_b64 v131, v[120:121], v[126:127] offset0:9 offset1:252
	ds_store_2addr_b64 v136, v[134:135], v[122:123] offset0:3 offset1:246
	;; [unrolled: 1-line block ×4, first 2 shown]
	s_waitcnt lgkmcnt(0)
	s_barrier
	buffer_gl0_inv
	ds_load_2addr_b64 v[112:115], v88 offset1:243
	ds_load_2addr_b64 v[116:119], v91 offset0:6 offset1:249
	ds_load_2addr_b64 v[120:123], v90 offset0:2 offset1:245
	;; [unrolled: 1-line block ×3, first 2 shown]
	ds_load_b64 v[93:94], v88 offset:15552
	s_waitcnt lgkmcnt(0)
	s_barrier
	buffer_gl0_inv
	v_dual_add_f32 v129, v113, v119 :: v_dual_add_f32 v128, v112, v118
	v_dual_add_f32 v135, v115, v125 :: v_dual_add_f32 v130, v118, v120
	;; [unrolled: 1-line block ×3, first 2 shown]
	v_sub_f32_e32 v132, v119, v121
	v_dual_add_f32 v136, v124, v122 :: v_dual_sub_f32 v137, v125, v123
	v_add_f32_e32 v119, v129, v121
	v_add_f32_e32 v121, v135, v123
	;; [unrolled: 1-line block ×3, first 2 shown]
	v_sub_f32_e32 v133, v118, v120
	v_add_f32_e32 v118, v128, v120
	v_sub_f32_e32 v128, v124, v122
	v_dual_add_f32 v124, v126, v93 :: v_dual_add_f32 v125, v117, v127
	v_sub_f32_e32 v129, v127, v94
	v_add_f32_e32 v127, v127, v94
	v_add_f32_e32 v120, v134, v122
	;; [unrolled: 1-line block ×3, first 2 shown]
	v_fma_f32 v112, -0.5, v130, v112
	v_fma_f32 v113, -0.5, v131, v113
	;; [unrolled: 1-line block ×3, first 2 shown]
	v_dual_fmac_f32 v115, -0.5, v123 :: v_dual_sub_f32 v134, v126, v93
	v_fma_f32 v116, -0.5, v124, v116
	v_fmac_f32_e32 v117, -0.5, v127
	v_dual_add_f32 v93, v122, v93 :: v_dual_fmamk_f32 v122, v132, 0xbf5db3d7, v112
	v_dual_fmamk_f32 v123, v133, 0x3f5db3d7, v113 :: v_dual_fmac_f32 v112, 0x3f5db3d7, v132
	v_dual_fmac_f32 v113, 0xbf5db3d7, v133 :: v_dual_add_f32 v94, v125, v94
	v_fmamk_f32 v124, v137, 0xbf5db3d7, v114
	v_dual_fmamk_f32 v125, v128, 0x3f5db3d7, v115 :: v_dual_fmac_f32 v114, 0x3f5db3d7, v137
	v_dual_fmac_f32 v115, 0xbf5db3d7, v128 :: v_dual_fmamk_f32 v126, v129, 0xbf5db3d7, v116
	v_dual_fmamk_f32 v127, v134, 0x3f5db3d7, v117 :: v_dual_fmac_f32 v116, 0x3f5db3d7, v129
	v_fmac_f32_e32 v117, 0xbf5db3d7, v134
	ds_store_2addr_b64 v95, v[118:119], v[122:123] offset1:1
	ds_store_b64 v95, v[112:113] offset:16
	ds_store_2addr_b64 v97, v[120:121], v[124:125] offset1:1
	ds_store_b64 v97, v[114:115] offset:16
	ds_store_2addr_b64 v98, v[93:94], v[126:127] offset1:1
	ds_store_b64 v98, v[116:117] offset:16
	s_waitcnt lgkmcnt(0)
	s_barrier
	buffer_gl0_inv
	ds_load_b64 v[93:94], v88 offset:15552
	ds_load_2addr_b64 v[112:115], v89 offset0:12 offset1:255
	ds_load_2addr_b64 v[116:119], v90 offset0:2 offset1:245
	;; [unrolled: 1-line block ×3, first 2 shown]
	ds_load_2addr_b64 v[124:127], v88 offset1:243
	s_waitcnt lgkmcnt(0)
	s_barrier
	buffer_gl0_inv
	v_dual_mul_f32 v95, v11, v94 :: v_dual_mul_f32 v98, v5, v113
	v_mul_f32_e32 v129, v3, v117
	v_dual_mul_f32 v3, v3, v116 :: v_dual_mul_f32 v130, v1, v123
	v_mul_f32_e32 v1, v1, v122
	;; [unrolled: 2-line block ×3, first 2 shown]
	v_mul_f32_e32 v11, v11, v93
	v_mul_f32_e32 v97, v9, v115
	;; [unrolled: 1-line block ×3, first 2 shown]
	v_fma_f32 v1, v0, v123, -v1
	v_fma_f32 v3, v2, v117, -v3
	v_dual_fmac_f32 v130, v0, v122 :: v_dual_fmac_f32 v129, v2, v116
	v_fmac_f32_e32 v98, v4, v112
	v_fma_f32 v4, v4, v113, -v5
	v_fmac_f32_e32 v128, v6, v118
	v_fma_f32 v5, v6, v119, -v7
	;; [unrolled: 2-line block ×4, first 2 shown]
	v_add_f32_e32 v0, v125, v1
	v_add_f32_e32 v6, v1, v3
	v_dual_add_f32 v2, v124, v130 :: v_dual_add_f32 v7, v130, v129
	v_dual_add_f32 v112, v4, v5 :: v_dual_add_f32 v113, v98, v128
	v_dual_add_f32 v114, v121, v8 :: v_dual_sub_f32 v115, v8, v10
	v_dual_add_f32 v8, v8, v10 :: v_dual_add_f32 v117, v97, v95
	v_sub_f32_e32 v11, v1, v3
	v_sub_f32_e32 v93, v130, v129
	v_add_f32_e32 v9, v127, v4
	v_dual_add_f32 v1, v0, v3 :: v_dual_add_f32 v0, v2, v129
	v_fma_f32 v2, -0.5, v7, v124
	v_fma_f32 v3, -0.5, v6, v125
	v_sub_f32_e32 v94, v4, v5
	v_add_f32_e32 v4, v126, v98
	v_sub_f32_e32 v98, v98, v128
	v_fma_f32 v126, -0.5, v113, v126
	v_dual_fmac_f32 v127, -0.5, v112 :: v_dual_add_f32 v116, v120, v97
	v_sub_f32_e32 v97, v97, v95
	v_fma_f32 v120, -0.5, v117, v120
	v_fmac_f32_e32 v121, -0.5, v8
	v_dual_add_f32 v5, v9, v5 :: v_dual_fmamk_f32 v8, v11, 0xbf5db3d7, v2
	v_dual_fmamk_f32 v9, v93, 0x3f5db3d7, v3 :: v_dual_fmac_f32 v2, 0x3f5db3d7, v11
	v_dual_fmac_f32 v3, 0xbf5db3d7, v93 :: v_dual_add_f32 v4, v4, v128
	v_add_f32_e32 v7, v114, v10
	v_fmamk_f32 v10, v94, 0xbf5db3d7, v126
	v_dual_fmamk_f32 v11, v98, 0x3f5db3d7, v127 :: v_dual_fmac_f32 v126, 0x3f5db3d7, v94
	v_dual_fmac_f32 v127, 0xbf5db3d7, v98 :: v_dual_add_f32 v6, v116, v95
	v_fmamk_f32 v93, v115, 0xbf5db3d7, v120
	v_fmamk_f32 v94, v97, 0x3f5db3d7, v121
	v_fmac_f32_e32 v120, 0x3f5db3d7, v115
	v_fmac_f32_e32 v121, 0xbf5db3d7, v97
	ds_store_2addr_b64 v96, v[0:1], v[8:9] offset1:3
	ds_store_b64 v96, v[2:3] offset:48
	ds_store_2addr_b64 v99, v[4:5], v[10:11] offset1:3
	ds_store_b64 v99, v[126:127] offset:48
	;; [unrolled: 2-line block ×3, first 2 shown]
	s_waitcnt lgkmcnt(0)
	s_barrier
	buffer_gl0_inv
	ds_load_b64 v[97:98], v88 offset:15552
	ds_load_2addr_b64 v[0:3], v89 offset0:12 offset1:255
	ds_load_2addr_b64 v[4:7], v90 offset0:2 offset1:245
	;; [unrolled: 1-line block ×3, first 2 shown]
	ds_load_2addr_b64 v[93:96], v88 offset1:243
	s_waitcnt lgkmcnt(0)
	s_barrier
	buffer_gl0_inv
	v_dual_mul_f32 v99, v23, v98 :: v_dual_mul_f32 v100, v21, v3
	v_mul_f32_e32 v21, v21, v2
	v_mul_f32_e32 v112, v17, v1
	;; [unrolled: 1-line block ×3, first 2 shown]
	v_dual_mul_f32 v114, v13, v10 :: v_dual_mul_f32 v115, v15, v4
	v_mul_f32_e32 v13, v13, v11
	v_mul_f32_e32 v15, v15, v5
	;; [unrolled: 1-line block ×4, first 2 shown]
	v_dual_mul_f32 v23, v23, v97 :: v_dual_fmac_f32 v100, v20, v2
	v_fma_f32 v2, v20, v3, -v21
	v_fmac_f32_e32 v112, v16, v0
	v_fma_f32 v0, v16, v1, -v17
	v_fma_f32 v1, v12, v11, -v114
	;; [unrolled: 1-line block ×3, first 2 shown]
	v_fmac_f32_e32 v13, v12, v10
	v_fmac_f32_e32 v15, v14, v4
	;; [unrolled: 1-line block ×3, first 2 shown]
	v_fma_f32 v5, v18, v7, -v19
	v_fmac_f32_e32 v99, v22, v97
	v_fma_f32 v22, v22, v98, -v23
	v_add_f32_e32 v4, v94, v1
	v_add_f32_e32 v6, v1, v3
	v_dual_add_f32 v10, v13, v15 :: v_dual_add_f32 v11, v96, v0
	v_add_f32_e32 v16, v0, v5
	v_dual_add_f32 v18, v112, v113 :: v_dual_add_f32 v23, v2, v22
	v_add_f32_e32 v98, v100, v99
	v_sub_f32_e32 v12, v1, v3
	v_add_f32_e32 v7, v93, v13
	v_dual_sub_f32 v13, v13, v15 :: v_dual_sub_f32 v14, v0, v5
	v_add_f32_e32 v1, v4, v3
	v_add_f32_e32 v3, v11, v5
	v_fma_f32 v4, -0.5, v10, v93
	v_fma_f32 v5, -0.5, v6, v94
	v_add_f32_e32 v17, v95, v112
	v_sub_f32_e32 v19, v112, v113
	v_fma_f32 v95, -0.5, v18, v95
	v_fmac_f32_e32 v96, -0.5, v16
	v_add_f32_e32 v20, v9, v2
	v_sub_f32_e32 v21, v2, v22
	v_add_f32_e32 v97, v8, v100
	v_sub_f32_e32 v100, v100, v99
	v_fma_f32 v8, -0.5, v98, v8
	v_fmac_f32_e32 v9, -0.5, v23
	v_add_f32_e32 v0, v7, v15
	v_fmamk_f32 v10, v12, 0xbf5db3d7, v4
	v_dual_fmamk_f32 v11, v13, 0x3f5db3d7, v5 :: v_dual_fmac_f32 v4, 0x3f5db3d7, v12
	v_fmac_f32_e32 v5, 0xbf5db3d7, v13
	v_add_f32_e32 v2, v17, v113
	v_fmamk_f32 v12, v14, 0xbf5db3d7, v95
	v_fmamk_f32 v13, v19, 0x3f5db3d7, v96
	v_fmac_f32_e32 v95, 0x3f5db3d7, v14
	v_dual_fmac_f32 v96, 0xbf5db3d7, v19 :: v_dual_add_f32 v7, v20, v22
	v_add_f32_e32 v6, v97, v99
	v_fmamk_f32 v14, v21, 0xbf5db3d7, v8
	v_dual_fmac_f32 v8, 0x3f5db3d7, v21 :: v_dual_fmamk_f32 v15, v100, 0x3f5db3d7, v9
	v_fmac_f32_e32 v9, 0xbf5db3d7, v100
	ds_store_2addr_b64 v101, v[0:1], v[10:11] offset1:9
	ds_store_b64 v101, v[4:5] offset:144
	ds_store_2addr_b64 v103, v[2:3], v[12:13] offset1:9
	ds_store_b64 v103, v[95:96] offset:144
	;; [unrolled: 2-line block ×3, first 2 shown]
	s_waitcnt lgkmcnt(0)
	s_barrier
	buffer_gl0_inv
	ds_load_2addr_b64 v[0:3], v91 offset0:6 offset1:249
	ds_load_2addr_b64 v[4:7], v90 offset0:2 offset1:245
	;; [unrolled: 1-line block ×3, first 2 shown]
	ds_load_b64 v[16:17], v88 offset:15552
	ds_load_2addr_b64 v[12:15], v88 offset1:243
	s_waitcnt lgkmcnt(0)
	s_barrier
	buffer_gl0_inv
	v_mul_f32_e32 v18, v25, v3
	v_dual_mul_f32 v19, v25, v2 :: v_dual_mul_f32 v20, v27, v5
	v_mul_f32_e32 v21, v27, v4
	v_mul_f32_e32 v22, v31, v7
	;; [unrolled: 1-line block ×8, first 2 shown]
	v_dual_mul_f32 v35, v35, v16 :: v_dual_fmac_f32 v18, v24, v2
	v_fma_f32 v2, v24, v3, -v19
	v_fmac_f32_e32 v20, v26, v4
	v_fma_f32 v3, v26, v5, -v21
	v_fmac_f32_e32 v22, v30, v6
	;; [unrolled: 2-line block ×5, first 2 shown]
	v_fma_f32 v9, v34, v17, -v35
	v_dual_add_f32 v7, v12, v18 :: v_dual_add_f32 v8, v18, v20
	v_dual_add_f32 v16, v2, v3 :: v_dual_add_f32 v19, v25, v22
	v_add_f32_e32 v24, v4, v5
	v_add_f32_e32 v27, v29, v33
	;; [unrolled: 1-line block ×3, first 2 shown]
	v_dual_sub_f32 v11, v2, v3 :: v_dual_add_f32 v10, v13, v2
	v_sub_f32_e32 v17, v18, v20
	v_sub_f32_e32 v28, v6, v9
	v_add_f32_e32 v30, v1, v6
	v_add_f32_e32 v2, v7, v20
	v_fma_f32 v6, -0.5, v8, v12
	v_fma_f32 v7, -0.5, v16, v13
	v_dual_add_f32 v18, v14, v25 :: v_dual_add_f32 v21, v15, v4
	v_sub_f32_e32 v23, v4, v5
	v_sub_f32_e32 v25, v25, v22
	v_fma_f32 v14, -0.5, v19, v14
	v_dual_fmac_f32 v15, -0.5, v24 :: v_dual_add_f32 v26, v0, v29
	v_sub_f32_e32 v29, v29, v33
	v_fma_f32 v0, -0.5, v27, v0
	v_fmac_f32_e32 v1, -0.5, v31
	v_dual_add_f32 v3, v10, v3 :: v_dual_fmamk_f32 v10, v11, 0xbf5db3d7, v6
	v_dual_fmac_f32 v6, 0x3f5db3d7, v11 :: v_dual_fmamk_f32 v11, v17, 0x3f5db3d7, v7
	v_dual_fmac_f32 v7, 0xbf5db3d7, v17 :: v_dual_add_f32 v4, v18, v22
	v_dual_add_f32 v5, v21, v5 :: v_dual_fmamk_f32 v12, v23, 0xbf5db3d7, v14
	v_dual_fmamk_f32 v13, v25, 0x3f5db3d7, v15 :: v_dual_fmac_f32 v14, 0x3f5db3d7, v23
	v_fmac_f32_e32 v15, 0xbf5db3d7, v25
	v_add_f32_e32 v8, v26, v33
	v_dual_add_f32 v9, v30, v9 :: v_dual_fmamk_f32 v16, v28, 0xbf5db3d7, v0
	v_dual_fmac_f32 v0, 0x3f5db3d7, v28 :: v_dual_fmamk_f32 v17, v29, 0x3f5db3d7, v1
	v_fmac_f32_e32 v1, 0xbf5db3d7, v29
	ds_store_2addr_b64 v104, v[2:3], v[10:11] offset1:27
	ds_store_b64 v104, v[6:7] offset:432
	ds_store_2addr_b64 v106, v[4:5], v[12:13] offset1:27
	ds_store_b64 v106, v[14:15] offset:432
	;; [unrolled: 2-line block ×3, first 2 shown]
	s_waitcnt lgkmcnt(0)
	s_barrier
	buffer_gl0_inv
	ds_load_2addr_b64 v[0:3], v91 offset0:6 offset1:249
	ds_load_2addr_b64 v[4:7], v90 offset0:2 offset1:245
	;; [unrolled: 1-line block ×3, first 2 shown]
	ds_load_b64 v[16:17], v88 offset:15552
	ds_load_2addr_b64 v[12:15], v88 offset1:243
	s_waitcnt lgkmcnt(0)
	s_barrier
	buffer_gl0_inv
	v_mul_f32_e32 v18, v37, v3
	v_dual_mul_f32 v19, v37, v2 :: v_dual_mul_f32 v20, v39, v5
	v_dual_mul_f32 v21, v39, v4 :: v_dual_mul_f32 v22, v41, v9
	;; [unrolled: 1-line block ×5, first 2 shown]
	v_dual_mul_f32 v29, v47, v16 :: v_dual_fmac_f32 v18, v36, v2
	v_fma_f32 v2, v36, v3, -v19
	v_fmac_f32_e32 v20, v38, v4
	v_fma_f32 v3, v38, v5, -v21
	v_fmac_f32_e32 v22, v40, v8
	;; [unrolled: 2-line block ×5, first 2 shown]
	v_fma_f32 v9, v46, v17, -v29
	v_add_f32_e32 v8, v18, v20
	v_add_f32_e32 v16, v2, v3
	;; [unrolled: 1-line block ×4, first 2 shown]
	v_dual_add_f32 v29, v26, v28 :: v_dual_add_f32 v32, v5, v9
	v_dual_add_f32 v6, v12, v18 :: v_dual_sub_f32 v11, v2, v3
	v_dual_add_f32 v10, v13, v2 :: v_dual_sub_f32 v17, v18, v20
	v_sub_f32_e32 v21, v4, v7
	v_dual_add_f32 v23, v15, v4 :: v_dual_sub_f32 v30, v5, v9
	v_add_f32_e32 v31, v1, v5
	v_fma_f32 v4, -0.5, v8, v12
	v_fma_f32 v5, -0.5, v16, v13
	v_add_f32_e32 v18, v14, v22
	v_sub_f32_e32 v22, v22, v24
	v_fma_f32 v14, -0.5, v19, v14
	v_fmac_f32_e32 v15, -0.5, v25
	v_dual_add_f32 v27, v0, v26 :: v_dual_sub_f32 v26, v26, v28
	v_fma_f32 v0, -0.5, v29, v0
	v_fmac_f32_e32 v1, -0.5, v32
	v_add_f32_e32 v2, v6, v20
	v_dual_add_f32 v3, v10, v3 :: v_dual_fmamk_f32 v10, v11, 0xbf5db3d7, v4
	v_dual_fmac_f32 v4, 0x3f5db3d7, v11 :: v_dual_fmamk_f32 v11, v17, 0x3f5db3d7, v5
	v_dual_fmac_f32 v5, 0xbf5db3d7, v17 :: v_dual_add_f32 v6, v18, v24
	v_dual_add_f32 v7, v23, v7 :: v_dual_fmamk_f32 v12, v21, 0xbf5db3d7, v14
	v_dual_fmamk_f32 v13, v22, 0x3f5db3d7, v15 :: v_dual_fmac_f32 v14, 0x3f5db3d7, v21
	v_dual_fmac_f32 v15, 0xbf5db3d7, v22 :: v_dual_add_f32 v8, v27, v28
	v_dual_add_f32 v9, v31, v9 :: v_dual_fmamk_f32 v16, v30, 0xbf5db3d7, v0
	v_dual_fmac_f32 v0, 0x3f5db3d7, v30 :: v_dual_fmamk_f32 v17, v26, 0x3f5db3d7, v1
	v_fmac_f32_e32 v1, 0xbf5db3d7, v26
	ds_store_2addr_b64 v109, v[2:3], v[10:11] offset1:81
	ds_store_b64 v109, v[4:5] offset:1296
	ds_store_2addr_b64 v108, v[6:7], v[12:13] offset1:81
	ds_store_b64 v108, v[14:15] offset:1296
	;; [unrolled: 2-line block ×3, first 2 shown]
	s_waitcnt lgkmcnt(0)
	s_barrier
	buffer_gl0_inv
	ds_load_2addr_b64 v[0:3], v91 offset0:6 offset1:249
	ds_load_2addr_b64 v[4:7], v90 offset0:2 offset1:245
	;; [unrolled: 1-line block ×3, first 2 shown]
	ds_load_b64 v[16:17], v88 offset:15552
	ds_load_2addr_b64 v[12:15], v88 offset1:243
	s_waitcnt lgkmcnt(0)
	s_barrier
	buffer_gl0_inv
	v_mul_f32_e32 v18, v61, v3
	v_dual_mul_f32 v19, v61, v2 :: v_dual_mul_f32 v20, v63, v5
	v_dual_mul_f32 v21, v63, v4 :: v_dual_mul_f32 v22, v61, v9
	;; [unrolled: 1-line block ×5, first 2 shown]
	v_dual_mul_f32 v29, v67, v16 :: v_dual_fmac_f32 v18, v60, v2
	v_fma_f32 v2, v60, v3, -v19
	v_fmac_f32_e32 v20, v62, v4
	v_fma_f32 v3, v62, v5, -v21
	v_fmac_f32_e32 v22, v60, v8
	;; [unrolled: 2-line block ×5, first 2 shown]
	v_fma_f32 v9, v66, v17, -v29
	v_add_f32_e32 v8, v18, v20
	v_add_f32_e32 v16, v2, v3
	;; [unrolled: 1-line block ×4, first 2 shown]
	v_dual_add_f32 v29, v26, v28 :: v_dual_add_f32 v32, v5, v9
	v_dual_add_f32 v6, v12, v18 :: v_dual_sub_f32 v11, v2, v3
	v_dual_add_f32 v10, v13, v2 :: v_dual_sub_f32 v17, v18, v20
	v_sub_f32_e32 v21, v4, v7
	v_dual_add_f32 v23, v15, v4 :: v_dual_sub_f32 v30, v5, v9
	v_add_f32_e32 v31, v1, v5
	v_fma_f32 v4, -0.5, v8, v12
	v_fma_f32 v5, -0.5, v16, v13
	v_add_f32_e32 v18, v14, v22
	v_sub_f32_e32 v22, v22, v24
	v_fma_f32 v14, -0.5, v19, v14
	v_fmac_f32_e32 v15, -0.5, v25
	v_dual_add_f32 v27, v0, v26 :: v_dual_sub_f32 v26, v26, v28
	v_fma_f32 v0, -0.5, v29, v0
	v_fmac_f32_e32 v1, -0.5, v32
	v_add_f32_e32 v2, v6, v20
	v_dual_add_f32 v3, v10, v3 :: v_dual_fmamk_f32 v10, v11, 0xbf5db3d7, v4
	v_dual_fmac_f32 v4, 0x3f5db3d7, v11 :: v_dual_fmamk_f32 v11, v17, 0x3f5db3d7, v5
	v_dual_add_f32 v6, v18, v24 :: v_dual_add_f32 v7, v23, v7
	v_dual_fmac_f32 v5, 0xbf5db3d7, v17 :: v_dual_fmamk_f32 v12, v21, 0xbf5db3d7, v14
	v_dual_fmac_f32 v14, 0x3f5db3d7, v21 :: v_dual_fmamk_f32 v13, v22, 0x3f5db3d7, v15
	v_dual_fmac_f32 v15, 0xbf5db3d7, v22 :: v_dual_add_f32 v8, v27, v28
	v_dual_add_f32 v9, v31, v9 :: v_dual_fmamk_f32 v16, v30, 0xbf5db3d7, v0
	v_dual_fmamk_f32 v17, v26, 0x3f5db3d7, v1 :: v_dual_fmac_f32 v0, 0x3f5db3d7, v30
	v_fmac_f32_e32 v1, 0xbf5db3d7, v26
	ds_store_2addr_b64 v88, v[2:3], v[10:11] offset1:243
	ds_store_2addr_b64 v91, v[4:5], v[6:7] offset0:6 offset1:249
	ds_store_2addr_b64 v89, v[12:13], v[14:15] offset0:12 offset1:255
	;; [unrolled: 1-line block ×3, first 2 shown]
	ds_store_b64 v110, v[0:1] offset:15552
	s_waitcnt lgkmcnt(0)
	s_barrier
	buffer_gl0_inv
	ds_load_2addr_b64 v[0:3], v91 offset0:6 offset1:249
	ds_load_2addr_b64 v[4:7], v90 offset0:2 offset1:245
	;; [unrolled: 1-line block ×3, first 2 shown]
	ds_load_b64 v[16:17], v88 offset:15552
	ds_load_2addr_b64 v[12:15], v88 offset1:243
	s_waitcnt lgkmcnt(4)
	v_mul_f32_e32 v18, v53, v3
	s_waitcnt lgkmcnt(3)
	v_dual_mul_f32 v19, v53, v2 :: v_dual_mul_f32 v20, v55, v5
	s_waitcnt lgkmcnt(2)
	v_dual_mul_f32 v21, v55, v4 :: v_dual_mul_f32 v22, v49, v9
	v_dual_mul_f32 v23, v49, v8 :: v_dual_mul_f32 v24, v51, v7
	;; [unrolled: 1-line block ×3, first 2 shown]
	s_waitcnt lgkmcnt(1)
	v_dual_mul_f32 v27, v57, v10 :: v_dual_mul_f32 v28, v59, v17
	v_dual_mul_f32 v29, v59, v16 :: v_dual_fmac_f32 v18, v52, v2
	v_fma_f32 v2, v52, v3, -v19
	v_fmac_f32_e32 v20, v54, v4
	v_fma_f32 v3, v54, v5, -v21
	v_fmac_f32_e32 v22, v48, v8
	;; [unrolled: 2-line block ×5, first 2 shown]
	v_fma_f32 v9, v58, v17, -v29
	v_add_f32_e32 v8, v18, v20
	v_add_f32_e32 v16, v2, v3
	;; [unrolled: 1-line block ×4, first 2 shown]
	v_dual_add_f32 v29, v26, v28 :: v_dual_add_f32 v32, v5, v9
	s_waitcnt lgkmcnt(0)
	v_dual_sub_f32 v11, v2, v3 :: v_dual_add_f32 v10, v13, v2
	v_sub_f32_e32 v17, v18, v20
	v_sub_f32_e32 v21, v4, v7
	v_dual_add_f32 v23, v15, v4 :: v_dual_sub_f32 v30, v5, v9
	v_add_f32_e32 v31, v1, v5
	v_fma_f32 v4, -0.5, v8, v12
	v_fma_f32 v5, -0.5, v16, v13
	v_add_f32_e32 v6, v12, v18
	v_add_f32_e32 v18, v14, v22
	v_dual_add_f32 v27, v0, v26 :: v_dual_sub_f32 v22, v22, v24
	v_sub_f32_e32 v26, v26, v28
	v_fma_f32 v14, -0.5, v19, v14
	v_fmac_f32_e32 v15, -0.5, v25
	v_fma_f32 v0, -0.5, v29, v0
	v_fmac_f32_e32 v1, -0.5, v32
	v_dual_add_f32 v3, v10, v3 :: v_dual_fmamk_f32 v10, v11, 0xbf5db3d7, v4
	v_dual_fmac_f32 v4, 0x3f5db3d7, v11 :: v_dual_fmamk_f32 v11, v17, 0x3f5db3d7, v5
	v_dual_fmac_f32 v5, 0xbf5db3d7, v17 :: v_dual_add_f32 v2, v6, v20
	v_dual_add_f32 v6, v18, v24 :: v_dual_add_f32 v7, v23, v7
	v_add_f32_e32 v8, v27, v28
	v_dual_add_f32 v9, v31, v9 :: v_dual_fmamk_f32 v12, v21, 0xbf5db3d7, v14
	v_fmamk_f32 v13, v22, 0x3f5db3d7, v15
	v_fmamk_f32 v16, v30, 0xbf5db3d7, v0
	v_dual_fmac_f32 v0, 0x3f5db3d7, v30 :: v_dual_fmamk_f32 v17, v26, 0x3f5db3d7, v1
	v_fmac_f32_e32 v1, 0xbf5db3d7, v26
	v_fmac_f32_e32 v14, 0x3f5db3d7, v21
	;; [unrolled: 1-line block ×3, first 2 shown]
	ds_store_b64 v88, v[10:11] offset:5832
	ds_store_b64 v88, v[4:5] offset:11664
	ds_store_2addr_b64 v88, v[2:3], v[6:7] offset1:243
	ds_store_b64 v88, v[8:9] offset:3888
	ds_store_2addr_b64 v89, v[12:13], v[16:17] offset0:12 offset1:255
	ds_store_2addr_b64 v92, v[14:15], v[0:1] offset0:5 offset1:248
	s_waitcnt lgkmcnt(0)
	s_barrier
	buffer_gl0_inv
	ds_load_2addr_b64 v[0:3], v88 offset1:243
	ds_load_2addr_b64 v[4:7], v91 offset0:6 offset1:249
	ds_load_b64 v[20:21], v88 offset:15552
	ds_load_2addr_b64 v[8:11], v90 offset0:2 offset1:245
	ds_load_2addr_b64 v[12:15], v89 offset0:12 offset1:255
	v_mad_u64_u32 v[16:17], null, s6, v68, 0
	v_mad_u64_u32 v[18:19], null, s4, v87, 0
	s_mul_i32 s6, s5, 0x16c8
	s_delay_alu instid0(VALU_DEP_1) | instskip(SKIP_1) | instid1(SALU_CYCLE_1)
	v_mad_u64_u32 v[22:23], null, s7, v68, v[17:18]
	s_mul_hi_u32 s7, s4, 0x16c8
	s_add_i32 s7, s7, s6
	s_waitcnt lgkmcnt(4)
	v_mul_f32_e32 v17, v70, v1
	s_waitcnt lgkmcnt(3)
	v_mul_f32_e32 v25, v72, v6
	s_waitcnt lgkmcnt(2)
	v_mad_u64_u32 v[23:24], null, s5, v87, v[19:20]
	v_dual_mul_f32 v19, v70, v0 :: v_dual_mul_f32 v24, v72, v7
	s_waitcnt lgkmcnt(1)
	v_mul_f32_e32 v26, v74, v9
	v_mul_f32_e32 v27, v74, v8
	;; [unrolled: 1-line block ×4, first 2 shown]
	s_waitcnt lgkmcnt(0)
	v_mul_f32_e32 v30, v82, v13
	v_dual_mul_f32 v31, v82, v12 :: v_dual_mul_f32 v32, v80, v11
	v_mul_f32_e32 v33, v80, v10
	v_fmac_f32_e32 v17, v69, v0
	v_fma_f32 v19, v69, v1, -v19
	v_mul_f32_e32 v34, v76, v5
	v_dual_mul_f32 v35, v76, v4 :: v_dual_fmac_f32 v24, v71, v6
	v_fma_f32 v6, v71, v7, -v25
	v_mul_f32_e32 v36, v84, v15
	v_dual_mul_f32 v37, v84, v14 :: v_dual_fmac_f32 v26, v73, v8
	;; [unrolled: 3-line block ×3, first 2 shown]
	v_fma_f32 v27, v77, v3, -v29
	v_fmac_f32_e32 v30, v81, v12
	s_delay_alu instid0(VALU_DEP_4)
	v_fmac_f32_e32 v38, v85, v20
	v_fma_f32 v29, v81, v13, -v31
	v_fmac_f32_e32 v32, v79, v10
	v_fma_f32 v31, v79, v11, -v33
	v_cvt_f64_f32_e32 v[0:1], v17
	v_cvt_f64_f32_e32 v[2:3], v19
	v_fmac_f32_e32 v34, v75, v4
	v_fma_f32 v33, v75, v5, -v35
	v_cvt_f64_f32_e32 v[4:5], v24
	v_cvt_f64_f32_e32 v[6:7], v6
	;; [unrolled: 4-line block ×3, first 2 shown]
	v_fma_f32 v40, v85, v21, -v39
	v_cvt_f64_f32_e32 v[12:13], v28
	v_cvt_f64_f32_e32 v[14:15], v27
	v_cvt_f64_f32_e32 v[20:21], v30
	v_cvt_f64_f32_e32 v[24:25], v29
	v_cvt_f64_f32_e32 v[26:27], v32
	v_cvt_f64_f32_e32 v[28:29], v31
	v_cvt_f64_f32_e32 v[30:31], v34
	v_cvt_f64_f32_e32 v[32:33], v33
	v_cvt_f64_f32_e32 v[34:35], v36
	v_cvt_f64_f32_e32 v[36:37], v37
	v_cvt_f64_f32_e32 v[38:39], v38
	v_cvt_f64_f32_e32 v[40:41], v40
	v_mov_b32_e32 v17, v22
	v_mov_b32_e32 v19, v23
	s_delay_alu instid0(VALU_DEP_2) | instskip(NEXT) | instid1(VALU_DEP_2)
	v_lshlrev_b64 v[16:17], 3, v[16:17]
	v_lshlrev_b64 v[18:19], 3, v[18:19]
	s_delay_alu instid0(VALU_DEP_2) | instskip(NEXT) | instid1(VALU_DEP_3)
	v_add_co_u32 v16, vcc_lo, s0, v16
	v_add_co_ci_u32_e32 v17, vcc_lo, s1, v17, vcc_lo
	v_mul_f64 v[0:1], v[0:1], s[2:3]
	v_mul_f64 v[2:3], v[2:3], s[2:3]
	s_delay_alu instid0(VALU_DEP_4)
	v_add_co_u32 v16, vcc_lo, v16, v18
	v_mul_f64 v[4:5], v[4:5], s[2:3]
	v_mul_f64 v[6:7], v[6:7], s[2:3]
	v_add_co_ci_u32_e32 v17, vcc_lo, v17, v19, vcc_lo
	v_mul_f64 v[8:9], v[8:9], s[2:3]
	v_mul_f64 v[10:11], v[10:11], s[2:3]
	s_mul_i32 s0, s5, 0xffffda08
	v_mul_f64 v[12:13], v[12:13], s[2:3]
	v_mul_f64 v[14:15], v[14:15], s[2:3]
	v_mul_f64 v[18:19], v[20:21], s[2:3]
	v_mul_f64 v[20:21], v[24:25], s[2:3]
	v_mul_f64 v[22:23], v[26:27], s[2:3]
	v_mul_f64 v[24:25], v[28:29], s[2:3]
	v_mul_f64 v[26:27], v[30:31], s[2:3]
	v_mul_f64 v[28:29], v[32:33], s[2:3]
	v_mul_f64 v[30:31], v[34:35], s[2:3]
	v_mul_f64 v[32:33], v[36:37], s[2:3]
	v_mul_f64 v[34:35], v[38:39], s[2:3]
	v_mul_f64 v[36:37], v[40:41], s[2:3]
	v_add_co_u32 v38, vcc_lo, v16, s8
	v_add_co_ci_u32_e32 v39, vcc_lo, s7, v17, vcc_lo
	s_sub_i32 s0, s0, s4
	s_delay_alu instid0(VALU_DEP_2) | instskip(NEXT) | instid1(VALU_DEP_2)
	v_add_co_u32 v40, vcc_lo, v38, s8
	v_add_co_ci_u32_e32 v41, vcc_lo, s7, v39, vcc_lo
	s_delay_alu instid0(VALU_DEP_1)
	v_mad_u64_u32 v[42:43], null, 0xffffda08, s4, v[40:41]
	v_cvt_f32_f64_e32 v0, v[0:1]
	v_cvt_f32_f64_e32 v1, v[2:3]
	;; [unrolled: 1-line block ×4, first 2 shown]
	v_add_nc_u32_e32 v43, s0, v43
	v_cvt_f32_f64_e32 v4, v[8:9]
	v_cvt_f32_f64_e32 v5, v[10:11]
	;; [unrolled: 1-line block ×14, first 2 shown]
	v_add_co_u32 v20, vcc_lo, v42, s8
	v_add_co_ci_u32_e32 v21, vcc_lo, s7, v43, vcc_lo
	s_delay_alu instid0(VALU_DEP_2) | instskip(NEXT) | instid1(VALU_DEP_2)
	v_add_co_u32 v22, vcc_lo, v20, s8
	v_add_co_ci_u32_e32 v23, vcc_lo, s7, v21, vcc_lo
	s_delay_alu instid0(VALU_DEP_1) | instskip(NEXT) | instid1(VALU_DEP_1)
	v_mad_u64_u32 v[24:25], null, 0xffffda08, s4, v[22:23]
	v_add_nc_u32_e32 v25, s0, v25
	s_delay_alu instid0(VALU_DEP_2) | instskip(NEXT) | instid1(VALU_DEP_2)
	v_add_co_u32 v26, vcc_lo, v24, s8
	v_add_co_ci_u32_e32 v27, vcc_lo, s7, v25, vcc_lo
	s_delay_alu instid0(VALU_DEP_2) | instskip(NEXT) | instid1(VALU_DEP_2)
	v_add_co_u32 v28, vcc_lo, v26, s8
	v_add_co_ci_u32_e32 v29, vcc_lo, s7, v27, vcc_lo
	s_clause 0x4
	global_store_b64 v[16:17], v[0:1], off
	global_store_b64 v[38:39], v[2:3], off
	;; [unrolled: 1-line block ×9, first 2 shown]
.LBB0_2:
	s_nop 0
	s_sendmsg sendmsg(MSG_DEALLOC_VGPRS)
	s_endpgm
	.section	.rodata,"a",@progbits
	.p2align	6, 0x0
	.amdhsa_kernel bluestein_single_back_len2187_dim1_sp_op_CI_CI
		.amdhsa_group_segment_fixed_size 17496
		.amdhsa_private_segment_fixed_size 0
		.amdhsa_kernarg_size 104
		.amdhsa_user_sgpr_count 15
		.amdhsa_user_sgpr_dispatch_ptr 0
		.amdhsa_user_sgpr_queue_ptr 0
		.amdhsa_user_sgpr_kernarg_segment_ptr 1
		.amdhsa_user_sgpr_dispatch_id 0
		.amdhsa_user_sgpr_private_segment_size 0
		.amdhsa_wavefront_size32 1
		.amdhsa_uses_dynamic_stack 0
		.amdhsa_enable_private_segment 0
		.amdhsa_system_sgpr_workgroup_id_x 1
		.amdhsa_system_sgpr_workgroup_id_y 0
		.amdhsa_system_sgpr_workgroup_id_z 0
		.amdhsa_system_sgpr_workgroup_info 0
		.amdhsa_system_vgpr_workitem_id 0
		.amdhsa_next_free_vgpr 139
		.amdhsa_next_free_sgpr 20
		.amdhsa_reserve_vcc 1
		.amdhsa_float_round_mode_32 0
		.amdhsa_float_round_mode_16_64 0
		.amdhsa_float_denorm_mode_32 3
		.amdhsa_float_denorm_mode_16_64 3
		.amdhsa_dx10_clamp 1
		.amdhsa_ieee_mode 1
		.amdhsa_fp16_overflow 0
		.amdhsa_workgroup_processor_mode 1
		.amdhsa_memory_ordered 1
		.amdhsa_forward_progress 0
		.amdhsa_shared_vgpr_count 0
		.amdhsa_exception_fp_ieee_invalid_op 0
		.amdhsa_exception_fp_denorm_src 0
		.amdhsa_exception_fp_ieee_div_zero 0
		.amdhsa_exception_fp_ieee_overflow 0
		.amdhsa_exception_fp_ieee_underflow 0
		.amdhsa_exception_fp_ieee_inexact 0
		.amdhsa_exception_int_div_zero 0
	.end_amdhsa_kernel
	.text
.Lfunc_end0:
	.size	bluestein_single_back_len2187_dim1_sp_op_CI_CI, .Lfunc_end0-bluestein_single_back_len2187_dim1_sp_op_CI_CI
                                        ; -- End function
	.section	.AMDGPU.csdata,"",@progbits
; Kernel info:
; codeLenInByte = 10384
; NumSgprs: 22
; NumVgprs: 139
; ScratchSize: 0
; MemoryBound: 0
; FloatMode: 240
; IeeeMode: 1
; LDSByteSize: 17496 bytes/workgroup (compile time only)
; SGPRBlocks: 2
; VGPRBlocks: 17
; NumSGPRsForWavesPerEU: 22
; NumVGPRsForWavesPerEU: 139
; Occupancy: 10
; WaveLimiterHint : 1
; COMPUTE_PGM_RSRC2:SCRATCH_EN: 0
; COMPUTE_PGM_RSRC2:USER_SGPR: 15
; COMPUTE_PGM_RSRC2:TRAP_HANDLER: 0
; COMPUTE_PGM_RSRC2:TGID_X_EN: 1
; COMPUTE_PGM_RSRC2:TGID_Y_EN: 0
; COMPUTE_PGM_RSRC2:TGID_Z_EN: 0
; COMPUTE_PGM_RSRC2:TIDIG_COMP_CNT: 0
	.text
	.p2alignl 7, 3214868480
	.fill 96, 4, 3214868480
	.type	__hip_cuid_66ad0812f5afec99,@object ; @__hip_cuid_66ad0812f5afec99
	.section	.bss,"aw",@nobits
	.globl	__hip_cuid_66ad0812f5afec99
__hip_cuid_66ad0812f5afec99:
	.byte	0                               ; 0x0
	.size	__hip_cuid_66ad0812f5afec99, 1

	.ident	"AMD clang version 19.0.0git (https://github.com/RadeonOpenCompute/llvm-project roc-6.4.0 25133 c7fe45cf4b819c5991fe208aaa96edf142730f1d)"
	.section	".note.GNU-stack","",@progbits
	.addrsig
	.addrsig_sym __hip_cuid_66ad0812f5afec99
	.amdgpu_metadata
---
amdhsa.kernels:
  - .args:
      - .actual_access:  read_only
        .address_space:  global
        .offset:         0
        .size:           8
        .value_kind:     global_buffer
      - .actual_access:  read_only
        .address_space:  global
        .offset:         8
        .size:           8
        .value_kind:     global_buffer
      - .actual_access:  read_only
        .address_space:  global
        .offset:         16
        .size:           8
        .value_kind:     global_buffer
      - .actual_access:  read_only
        .address_space:  global
        .offset:         24
        .size:           8
        .value_kind:     global_buffer
      - .actual_access:  read_only
        .address_space:  global
        .offset:         32
        .size:           8
        .value_kind:     global_buffer
      - .offset:         40
        .size:           8
        .value_kind:     by_value
      - .address_space:  global
        .offset:         48
        .size:           8
        .value_kind:     global_buffer
      - .address_space:  global
        .offset:         56
        .size:           8
        .value_kind:     global_buffer
      - .address_space:  global
        .offset:         64
        .size:           8
        .value_kind:     global_buffer
      - .address_space:  global
        .offset:         72
        .size:           8
        .value_kind:     global_buffer
      - .offset:         80
        .size:           4
        .value_kind:     by_value
      - .address_space:  global
        .offset:         88
        .size:           8
        .value_kind:     global_buffer
      - .address_space:  global
        .offset:         96
        .size:           8
        .value_kind:     global_buffer
    .group_segment_fixed_size: 17496
    .kernarg_segment_align: 8
    .kernarg_segment_size: 104
    .language:       OpenCL C
    .language_version:
      - 2
      - 0
    .max_flat_workgroup_size: 243
    .name:           bluestein_single_back_len2187_dim1_sp_op_CI_CI
    .private_segment_fixed_size: 0
    .sgpr_count:     22
    .sgpr_spill_count: 0
    .symbol:         bluestein_single_back_len2187_dim1_sp_op_CI_CI.kd
    .uniform_work_group_size: 1
    .uses_dynamic_stack: false
    .vgpr_count:     139
    .vgpr_spill_count: 0
    .wavefront_size: 32
    .workgroup_processor_mode: 1
amdhsa.target:   amdgcn-amd-amdhsa--gfx1100
amdhsa.version:
  - 1
  - 2
...

	.end_amdgpu_metadata
